;; amdgpu-corpus repo=ROCm/rocFFT kind=compiled arch=gfx1201 opt=O3
	.text
	.amdgcn_target "amdgcn-amd-amdhsa--gfx1201"
	.amdhsa_code_object_version 6
	.protected	bluestein_single_back_len3240_dim1_half_op_CI_CI ; -- Begin function bluestein_single_back_len3240_dim1_half_op_CI_CI
	.globl	bluestein_single_back_len3240_dim1_half_op_CI_CI
	.p2align	8
	.type	bluestein_single_back_len3240_dim1_half_op_CI_CI,@function
bluestein_single_back_len3240_dim1_half_op_CI_CI: ; @bluestein_single_back_len3240_dim1_half_op_CI_CI
; %bb.0:
	s_load_b128 s[12:15], s[0:1], 0x28
	v_mul_u32_u24_e32 v1, 0x25f, v0
	s_mov_b32 s2, exec_lo
	v_mov_b32_e32 v3, 0
	s_delay_alu instid0(VALU_DEP_2) | instskip(NEXT) | instid1(VALU_DEP_1)
	v_lshrrev_b32_e32 v1, 16, v1
	v_add_nc_u32_e32 v2, ttmp9, v1
	s_wait_kmcnt 0x0
	s_delay_alu instid0(VALU_DEP_1)
	v_cmpx_gt_u64_e64 s[12:13], v[2:3]
	s_cbranch_execz .LBB0_2
; %bb.1:
	s_clause 0x1
	s_load_b128 s[8:11], s[0:1], 0x18
	s_load_b128 s[4:7], s[0:1], 0x0
	v_mul_lo_u16 v1, 0x6c, v1
	s_movk_i32 s12, 0xdff0
	s_mov_b32 s13, -1
	s_load_b64 s[0:1], s[0:1], 0x38
	v_mov_b32_e32 v4, v2
	v_sub_nc_u16 v28, v0, v1
	scratch_store_b64 off, v[4:5], off offset:216 ; 8-byte Folded Spill
	v_and_b32_e32 v153, 0xffff, v28
	s_delay_alu instid0(VALU_DEP_1)
	v_lshlrev_b32_e32 v151, 2, v153
	s_wait_kmcnt 0x0
	s_load_b128 s[16:19], s[8:9], 0x0
	s_clause 0x2
	global_load_b32 v37, v151, s[4:5]
	global_load_b32 v35, v151, s[4:5] offset:4320
	global_load_b32 v33, v151, s[4:5] offset:8640
	v_add_nc_u32_e32 v113, 0x200, v151
	v_add_nc_u32_e32 v111, 0x1400, v151
	;; [unrolled: 1-line block ×8, first 2 shown]
	s_wait_kmcnt 0x0
	v_mad_co_u64_u32 v[0:1], null, s18, v2, 0
	v_mad_co_u64_u32 v[2:3], null, s16, v153, 0
	s_mul_u64 s[2:3], s[16:17], 0x10e0
	s_mul_u64 s[8:9], s[16:17], s[12:13]
	s_delay_alu instid0(VALU_DEP_1) | instskip(NEXT) | instid1(VALU_DEP_1)
	v_mad_co_u64_u32 v[4:5], null, s19, v4, v[1:2]
	v_mad_co_u64_u32 v[5:6], null, s17, v153, v[3:4]
	v_mov_b32_e32 v1, v4
	s_delay_alu instid0(VALU_DEP_1) | instskip(NEXT) | instid1(VALU_DEP_3)
	v_lshlrev_b64_e32 v[0:1], 2, v[0:1]
	v_mov_b32_e32 v3, v5
	s_delay_alu instid0(VALU_DEP_2) | instskip(NEXT) | instid1(VALU_DEP_2)
	v_add_co_u32 v0, vcc_lo, s14, v0
	v_lshlrev_b64_e32 v[2:3], 2, v[2:3]
	s_delay_alu instid0(VALU_DEP_4) | instskip(NEXT) | instid1(VALU_DEP_2)
	v_add_co_ci_u32_e32 v1, vcc_lo, s15, v1, vcc_lo
	v_add_co_u32 v0, vcc_lo, v0, v2
	s_wait_alu 0xfffd
	s_delay_alu instid0(VALU_DEP_2)
	v_add_co_ci_u32_e32 v1, vcc_lo, v1, v3, vcc_lo
	global_load_b32 v6, v[0:1], off
	v_add_co_u32 v0, vcc_lo, v0, s2
	s_wait_alu 0xfffd
	v_add_co_ci_u32_e32 v1, vcc_lo, s3, v1, vcc_lo
	global_load_b32 v5, v[0:1], off
	v_add_co_u32 v0, vcc_lo, v0, s2
	s_wait_alu 0xfffd
	;; [unrolled: 4-line block ×3, first 2 shown]
	v_add_co_ci_u32_e32 v1, vcc_lo, s9, v1, vcc_lo
	global_load_b32 v36, v151, s[4:5] offset:432
	global_load_b32 v8, v[0:1], off
	v_add_co_u32 v0, vcc_lo, v0, s2
	s_wait_alu 0xfffd
	v_add_co_ci_u32_e32 v1, vcc_lo, s3, v1, vcc_lo
	global_load_b32 v34, v151, s[4:5] offset:4752
	v_add_co_u32 v2, vcc_lo, v0, s2
	s_wait_alu 0xfffd
	v_add_co_ci_u32_e32 v3, vcc_lo, s3, v1, vcc_lo
	global_load_b32 v7, v[0:1], off
	v_add_co_u32 v0, vcc_lo, v2, s8
	s_wait_alu 0xfffd
	v_add_co_ci_u32_e32 v1, vcc_lo, s9, v3, vcc_lo
	s_delay_alu instid0(VALU_DEP_2) | instskip(SKIP_1) | instid1(VALU_DEP_2)
	v_add_co_u32 v12, vcc_lo, v0, s2
	s_wait_alu 0xfffd
	v_add_co_ci_u32_e32 v13, vcc_lo, s3, v1, vcc_lo
	global_load_b32 v27, v151, s[4:5] offset:5184
	global_load_b32 v11, v[12:13], off
	global_load_b32 v32, v151, s[4:5] offset:9072
	global_load_b32 v10, v[2:3], off
	v_add_co_u32 v12, vcc_lo, v12, s2
	s_wait_alu 0xfffd
	v_add_co_ci_u32_e32 v13, vcc_lo, s3, v13, vcc_lo
	global_load_b32 v23, v151, s[4:5] offset:9504
	global_load_b32 v4, v[12:13], off
	global_load_b32 v31, v151, s[4:5] offset:864
	global_load_b32 v3, v[0:1], off
	v_add_co_u32 v0, vcc_lo, v12, s8
	s_wait_alu 0xfffd
	v_add_co_ci_u32_e32 v1, vcc_lo, s9, v13, vcc_lo
	global_load_b32 v29, v151, s[4:5] offset:1296
	global_load_b32 v2, v[0:1], off
	s_clause 0x9
	global_load_b32 v26, v151, s[4:5] offset:9936
	global_load_b32 v30, v151, s[4:5] offset:5616
	;; [unrolled: 1-line block ×10, first 2 shown]
	v_add_co_u32 v0, vcc_lo, v0, s2
	s_wait_alu 0xfffd
	v_add_co_ci_u32_e32 v1, vcc_lo, s3, v1, vcc_lo
	s_wait_loadcnt 0x1d
	v_lshrrev_b32_e32 v13, 16, v37
	s_wait_loadcnt 0x1c
	v_lshrrev_b32_e32 v38, 16, v35
	scratch_store_b32 off, v37, off offset:244 ; 4-byte Folded Spill
	v_mov_b32_e32 v14, v13
	scratch_store_b32 off, v14, off offset:240 ; 4-byte Folded Spill
	s_wait_loadcnt 0x1a
	v_lshrrev_b32_e32 v12, 16, v6
	v_mul_f16_e32 v13, v14, v6
	s_delay_alu instid0(VALU_DEP_2) | instskip(NEXT) | instid1(VALU_DEP_2)
	v_mul_f16_e32 v14, v14, v12
	v_fma_f16 v12, v37, v12, -v13
	s_wait_loadcnt 0x19
	v_lshrrev_b32_e32 v15, 16, v5
	v_mul_f16_e32 v16, v38, v5
	v_fmac_f16_e32 v14, v37, v6
	v_lshrrev_b32_e32 v37, 16, v33
	s_delay_alu instid0(VALU_DEP_4) | instskip(NEXT) | instid1(VALU_DEP_4)
	v_mul_f16_e32 v6, v38, v15
	v_fma_f16 v13, v35, v15, -v16
	s_delay_alu instid0(VALU_DEP_4) | instskip(SKIP_4) | instid1(VALU_DEP_3)
	v_pack_b32_f16 v12, v14, v12
	s_wait_loadcnt 0x18
	v_lshrrev_b32_e32 v15, 16, v9
	v_mul_f16_e32 v14, v37, v9
	v_fmac_f16_e32 v6, v35, v5
	v_mul_f16_e32 v5, v37, v15
	s_delay_alu instid0(VALU_DEP_3)
	v_fma_f16 v14, v33, v15, -v14
	s_wait_loadcnt 0x17
	v_lshrrev_b32_e32 v15, 16, v36
	v_pack_b32_f16 v6, v6, v13
	scratch_store_b32 off, v36, off offset:224 ; 4-byte Folded Spill
	v_fmac_f16_e32 v5, v33, v9
	s_wait_loadcnt 0x16
	v_lshrrev_b32_e32 v9, 16, v8
	scratch_store_b32 off, v15, off offset:228 ; 4-byte Folded Spill
	v_mul_f16_e32 v13, v15, v8
	s_clause 0x1
	scratch_store_b32 off, v35, off offset:236
	scratch_store_b32 off, v38, off offset:232
	v_pack_b32_f16 v5, v5, v14
	s_wait_loadcnt 0x15
	v_lshrrev_b32_e32 v14, 16, v34
	v_fma_f16 v13, v36, v9, -v13
	v_mul_f16_e32 v9, v15, v9
	ds_store_b32 v151, v6 offset:4320
	ds_store_b32 v151, v5 offset:8640
	s_wait_loadcnt 0x14
	v_mul_f16_e32 v6, v14, v7
	scratch_store_b32 off, v14, off offset:204 ; 4-byte Folded Spill
	v_fmac_f16_e32 v9, v36, v8
	v_lshrrev_b32_e32 v8, 16, v7
	s_delay_alu instid0(VALU_DEP_2) | instskip(NEXT) | instid1(VALU_DEP_2)
	v_pack_b32_f16 v5, v9, v13
	v_fma_f16 v6, v34, v8, -v6
	v_mul_f16_e32 v8, v14, v8
	s_wait_loadcnt 0x13
	v_lshrrev_b32_e32 v14, 16, v27
	s_wait_loadcnt 0x12
	v_lshrrev_b32_e32 v9, 16, v11
	ds_store_2addr_b32 v151, v12, v5 offset1:108
	s_wait_loadcnt 0x11
	v_lshrrev_b32_e32 v12, 16, v32
	s_clause 0x3
	scratch_store_b32 off, v32, off offset:192
	scratch_store_b32 off, v34, off offset:200
	;; [unrolled: 1-line block ×4, first 2 shown]
	v_fmac_f16_e32 v8, v34, v7
	v_mul_f16_e32 v7, v14, v11
	v_mul_f16_e32 v5, v14, v9
	scratch_store_b32 off, v12, off offset:196 ; 4-byte Folded Spill
	s_wait_loadcnt 0xd
	scratch_store_b32 off, v31, off offset:188 ; 4-byte Folded Spill
	v_pack_b32_f16 v6, v8, v6
	v_fma_f16 v7, v27, v9, -v7
	v_lshrrev_b32_e32 v9, 16, v10
	v_fmac_f16_e32 v5, v27, v11
	v_mul_f16_e32 v11, v12, v10
	s_delay_alu instid0(VALU_DEP_2) | instskip(NEXT) | instid1(VALU_DEP_2)
	v_pack_b32_f16 v5, v5, v7
	v_fma_f16 v11, v32, v9, -v11
	v_mul_f16_e32 v9, v12, v9
	v_add_nc_u32_e32 v12, 0x1200, v151
	v_lshrrev_b32_e32 v7, 16, v4
	s_delay_alu instid0(VALU_DEP_3)
	v_fmac_f16_e32 v9, v32, v10
	v_lshrrev_b32_e32 v10, 16, v23
	scratch_store_b32 off, v23, off offset:164 ; 4-byte Folded Spill
	ds_store_2addr_b32 v12, v6, v5 offset0:36 offset1:144
	v_pack_b32_f16 v8, v9, v11
	scratch_store_b32 off, v10, off offset:160 ; 4-byte Folded Spill
	v_mul_f16_e32 v9, v10, v4
	v_mul_f16_e32 v5, v10, v7
	v_lshrrev_b32_e32 v10, 16, v31
	s_wait_loadcnt 0x7
	v_lshrrev_b32_e32 v11, 16, v21
	scratch_store_b32 off, v21, off offset:128 ; 4-byte Folded Spill
	v_fma_f16 v6, v23, v7, -v9
	v_lshrrev_b32_e32 v7, 16, v3
	v_fmac_f16_e32 v5, v23, v4
	scratch_store_b32 off, v11, off offset:132 ; 4-byte Folded Spill
	v_mul_f16_e32 v4, v10, v3
	v_add_nc_u32_e32 v9, 0x2200, v151
	scratch_store_b32 off, v10, off offset:184 ; 4-byte Folded Spill
	v_pack_b32_f16 v5, v5, v6
	v_lshrrev_b32_e32 v6, 16, v29
	v_fma_f16 v4, v31, v7, -v4
	v_mul_f16_e32 v7, v10, v7
	scratch_store_b32 off, v29, off offset:168 ; 4-byte Folded Spill
	ds_store_2addr_b32 v9, v8, v5 offset0:92 offset1:200
	scratch_store_b32 off, v6, off offset:172 ; 4-byte Folded Spill
	v_mul_f16_e32 v5, v6, v2
	v_fmac_f16_e32 v7, v31, v3
	v_lshrrev_b32_e32 v3, 16, v2
	global_load_b32 v8, v[0:1], off
	s_clause 0x1
	scratch_store_b32 off, v27, off offset:180
	scratch_store_b32 off, v14, off offset:176
	v_pack_b32_f16 v4, v7, v4
	v_fma_f16 v5, v29, v3, -v5
	v_mul_f16_e32 v3, v6, v3
	v_lshrrev_b32_e32 v10, 16, v30
	s_delay_alu instid0(VALU_DEP_2)
	v_fmac_f16_e32 v3, v29, v2
	v_add_co_u32 v2, vcc_lo, v0, s2
	scratch_store_b32 off, v10, off offset:156 ; 4-byte Folded Spill
	v_pack_b32_f16 v5, v3, v5
	s_wait_alu 0xfffd
	v_add_co_ci_u32_e32 v3, vcc_lo, s3, v1, vcc_lo
	v_add_co_u32 v0, vcc_lo, v2, s8
	ds_store_2addr_b32 v113, v4, v5 offset0:88 offset1:196
	s_wait_alu 0xfffd
	v_add_co_ci_u32_e32 v1, vcc_lo, s9, v3, vcc_lo
	v_add_co_u32 v4, vcc_lo, v0, s2
	s_wait_alu 0xfffd
	s_delay_alu instid0(VALU_DEP_2) | instskip(NEXT) | instid1(VALU_DEP_2)
	v_add_co_ci_u32_e32 v5, vcc_lo, s3, v1, vcc_lo
	v_add_co_u32 v6, vcc_lo, v4, s2
	global_load_b32 v4, v[4:5], off
	s_wait_alu 0xfffd
	v_add_co_ci_u32_e32 v7, vcc_lo, s3, v5, vcc_lo
	s_wait_loadcnt 0x1
	v_lshrrev_b32_e32 v5, 16, v8
	v_mul_f16_e32 v9, v10, v8
	s_delay_alu instid0(VALU_DEP_1) | instskip(SKIP_1) | instid1(VALU_DEP_1)
	v_fma_f16 v9, v30, v5, -v9
	v_mul_f16_e32 v5, v10, v5
	v_fmac_f16_e32 v5, v30, v8
	s_wait_loadcnt 0x0
	v_lshrrev_b32_e32 v8, 16, v4
	v_mul_f16_e32 v10, v11, v4
	s_delay_alu instid0(VALU_DEP_1) | instskip(SKIP_1) | instid1(VALU_DEP_1)
	v_fma_f16 v10, v21, v8, -v10
	v_mul_f16_e32 v8, v11, v8
	v_fmac_f16_e32 v8, v21, v4
	v_pack_b32_f16 v4, v5, v9
	global_load_b32 v9, v151, s[4:5] offset:10368
	v_pack_b32_f16 v5, v8, v10
	v_lshrrev_b32_e32 v8, 16, v26
	s_clause 0x1
	scratch_store_b32 off, v26, off offset:144
	scratch_store_b32 off, v30, off offset:152
	ds_store_2addr_b32 v111, v4, v5 offset0:124 offset1:232
	scratch_store_b32 off, v8, off offset:148 ; 4-byte Folded Spill
	global_load_b32 v4, v[2:3], off
	global_load_b32 v5, v[6:7], off
	v_add_co_u32 v2, vcc_lo, v6, s8
	s_wait_alu 0xfffd
	v_add_co_ci_u32_e32 v3, vcc_lo, s9, v7, vcc_lo
	s_wait_loadcnt 0x2
	v_lshrrev_b32_e32 v10, 16, v9
	scratch_store_b32 off, v9, off offset:104 ; 4-byte Folded Spill
	s_clause 0x4
	global_load_b32 v23, v151, s[4:5] offset:10800
	global_load_b32 v16, v151, s[4:5] offset:11232
	;; [unrolled: 1-line block ×5, first 2 shown]
	scratch_store_b32 off, v10, off offset:108 ; 4-byte Folded Spill
	s_wait_loadcnt 0x6
	v_lshrrev_b32_e32 v6, 16, v4
	v_mul_f16_e32 v7, v8, v4
	s_delay_alu instid0(VALU_DEP_1) | instskip(SKIP_3) | instid1(VALU_DEP_2)
	v_fma_f16 v7, v26, v6, -v7
	v_mul_f16_e32 v6, v8, v6
	s_wait_loadcnt 0x5
	v_mul_f16_e32 v8, v10, v5
	v_fmac_f16_e32 v6, v26, v4
	v_lshrrev_b32_e32 v4, 16, v5
	s_delay_alu instid0(VALU_DEP_1)
	v_fma_f16 v8, v9, v4, -v8
	v_mul_f16_e32 v4, v10, v4
	v_lshrrev_b32_e32 v10, 16, v20
	scratch_store_b32 off, v20, off offset:112 ; 4-byte Folded Spill
	v_fmac_f16_e32 v4, v9, v5
	scratch_store_b32 off, v10, off offset:116 ; 4-byte Folded Spill
	v_pack_b32_f16 v5, v6, v7
	v_add_nc_u32_e32 v6, 0x2600, v151
	v_lshrrev_b32_e32 v7, 16, v24
	v_pack_b32_f16 v4, v4, v8
	s_clause 0x1
	scratch_store_b32 off, v24, off offset:120
	scratch_store_b32 off, v7, off offset:124
	ds_store_2addr_b32 v6, v5, v4 offset0:52 offset1:160
	global_load_b32 v4, v[0:1], off
	v_add_co_u32 v0, vcc_lo, v2, s2
	global_load_b32 v2, v[2:3], off
	s_wait_alu 0xfffd
	v_add_co_ci_u32_e32 v1, vcc_lo, s3, v3, vcc_lo
	v_lshrrev_b32_e32 v6, 16, v25
	scratch_store_b32 off, v25, off offset:136 ; 4-byte Folded Spill
	global_load_b32 v8, v[0:1], off
	scratch_store_b32 off, v6, off offset:140 ; 4-byte Folded Spill
	s_wait_loadcnt 0x2
	v_lshrrev_b32_e32 v3, 16, v4
	v_mul_f16_e32 v5, v6, v4
	s_delay_alu instid0(VALU_DEP_1)
	v_fma_f16 v5, v25, v3, -v5
	v_mul_f16_e32 v3, v6, v3
	s_wait_loadcnt 0x1
	v_mul_f16_e32 v6, v7, v2
	s_wait_loadcnt 0x0
	v_mul_f16_e32 v9, v10, v8
	v_fmac_f16_e32 v3, v25, v4
	v_lshrrev_b32_e32 v4, 16, v2
	s_delay_alu instid0(VALU_DEP_1) | instskip(SKIP_1) | instid1(VALU_DEP_1)
	v_fma_f16 v6, v24, v4, -v6
	v_mul_f16_e32 v4, v7, v4
	v_fmac_f16_e32 v4, v24, v2
	v_pack_b32_f16 v2, v3, v5
	s_delay_alu instid0(VALU_DEP_2) | instskip(SKIP_4) | instid1(VALU_DEP_2)
	v_pack_b32_f16 v3, v4, v6
	ds_store_2addr_b32 v197, v2, v3 offset0:48 offset1:156
	v_add_co_u32 v2, vcc_lo, v0, s2
	s_wait_alu 0xfffd
	v_add_co_ci_u32_e32 v3, vcc_lo, s3, v1, vcc_lo
	v_add_co_u32 v0, vcc_lo, v2, s8
	s_wait_alu 0xfffd
	s_delay_alu instid0(VALU_DEP_2) | instskip(NEXT) | instid1(VALU_DEP_2)
	v_add_co_ci_u32_e32 v1, vcc_lo, s9, v3, vcc_lo
	v_add_co_u32 v4, vcc_lo, v0, s2
	s_wait_alu 0xfffd
	s_delay_alu instid0(VALU_DEP_2) | instskip(NEXT) | instid1(VALU_DEP_2)
	v_add_co_ci_u32_e32 v5, vcc_lo, s3, v1, vcc_lo
	v_add_co_u32 v6, vcc_lo, v4, s2
	s_wait_alu 0xfffd
	s_delay_alu instid0(VALU_DEP_2) | instskip(SKIP_2) | instid1(VALU_DEP_1)
	v_add_co_ci_u32_e32 v7, vcc_lo, s3, v5, vcc_lo
	global_load_b32 v4, v[4:5], off
	v_lshrrev_b32_e32 v5, 16, v8
	v_fma_f16 v9, v20, v5, -v9
	v_mul_f16_e32 v5, v10, v5
	s_delay_alu instid0(VALU_DEP_1)
	v_fmac_f16_e32 v5, v20, v8
	global_load_b32 v20, v151, s[4:5] offset:6912
	s_wait_loadcnt 0x1
	v_lshrrev_b32_e32 v8, 16, v4
	s_wait_loadcnt 0x0
	v_lshrrev_b32_e32 v21, 16, v20
	scratch_store_b32 off, v20, off offset:80 ; 4-byte Folded Spill
	s_clause 0x1
	global_load_b32 v14, v151, s[4:5] offset:7344
	global_load_b32 v13, v151, s[4:5] offset:7776
	scratch_store_b32 off, v21, off offset:84 ; 4-byte Folded Spill
	v_mul_f16_e32 v10, v21, v4
	s_delay_alu instid0(VALU_DEP_1) | instskip(SKIP_1) | instid1(VALU_DEP_1)
	v_fma_f16 v10, v20, v8, -v10
	v_mul_f16_e32 v8, v21, v8
	v_fmac_f16_e32 v8, v20, v4
	v_pack_b32_f16 v4, v5, v9
	v_lshrrev_b32_e32 v9, 16, v16
	scratch_store_b32 off, v16, off offset:64 ; 4-byte Folded Spill
	v_pack_b32_f16 v5, v8, v10
	v_add_nc_u32_e32 v8, 0x1800, v151
	scratch_store_b32 off, v9, off offset:68 ; 4-byte Folded Spill
	ds_store_2addr_b32 v8, v4, v5 offset0:84 offset1:192
	global_load_b32 v4, v[2:3], off
	global_load_b32 v5, v[6:7], off
	v_lshrrev_b32_e32 v8, 16, v23
	v_add_co_u32 v2, vcc_lo, v6, s8
	s_wait_alu 0xfffd
	v_add_co_ci_u32_e32 v3, vcc_lo, s9, v7, vcc_lo
	s_clause 0x1
	scratch_store_b32 off, v23, off offset:96
	scratch_store_b32 off, v8, off offset:100
	s_wait_loadcnt 0x3
	v_lshrrev_b32_e32 v10, 16, v14
	s_clause 0x1
	scratch_store_b32 off, v14, off offset:56
	scratch_store_b32 off, v10, off offset:60
	s_wait_loadcnt 0x1
	v_lshrrev_b32_e32 v6, 16, v4
	v_mul_f16_e32 v7, v8, v4
	s_delay_alu instid0(VALU_DEP_1) | instskip(SKIP_3) | instid1(VALU_DEP_2)
	v_fma_f16 v7, v23, v6, -v7
	v_mul_f16_e32 v6, v8, v6
	s_wait_loadcnt 0x0
	v_mul_f16_e32 v8, v9, v5
	v_fmac_f16_e32 v6, v23, v4
	v_lshrrev_b32_e32 v4, 16, v5
	s_delay_alu instid0(VALU_DEP_1) | instskip(SKIP_1) | instid1(VALU_DEP_1)
	v_fma_f16 v8, v16, v4, -v8
	v_mul_f16_e32 v4, v9, v4
	v_fmac_f16_e32 v4, v16, v5
	v_pack_b32_f16 v5, v6, v7
	v_lshrrev_b32_e32 v6, 16, v22
	v_lshrrev_b32_e32 v7, 16, v19
	scratch_store_b32 off, v22, off offset:88 ; 4-byte Folded Spill
	v_pack_b32_f16 v4, v4, v8
	s_clause 0x2
	scratch_store_b32 off, v19, off offset:72
	scratch_store_b32 off, v6, off offset:92
	;; [unrolled: 1-line block ×3, first 2 shown]
	ds_store_2addr_b32 v190, v5, v4 offset0:140 offset1:248
	global_load_b32 v4, v[0:1], off
	v_add_co_u32 v0, vcc_lo, v2, s2
	global_load_b32 v2, v[2:3], off
	s_wait_alu 0xfffd
	v_add_co_ci_u32_e32 v1, vcc_lo, s3, v3, vcc_lo
	global_load_b32 v8, v[0:1], off
	s_wait_loadcnt 0x2
	v_lshrrev_b32_e32 v3, 16, v4
	v_mul_f16_e32 v5, v6, v4
	s_delay_alu instid0(VALU_DEP_1)
	v_fma_f16 v5, v22, v3, -v5
	v_mul_f16_e32 v3, v6, v3
	s_wait_loadcnt 0x1
	v_mul_f16_e32 v6, v7, v2
	s_wait_loadcnt 0x0
	v_mul_f16_e32 v9, v10, v8
	v_fmac_f16_e32 v3, v22, v4
	v_lshrrev_b32_e32 v4, 16, v2
	s_delay_alu instid0(VALU_DEP_1) | instskip(SKIP_1) | instid1(VALU_DEP_1)
	v_fma_f16 v6, v19, v4, -v6
	v_mul_f16_e32 v4, v7, v4
	v_fmac_f16_e32 v4, v19, v2
	v_pack_b32_f16 v2, v3, v5
	s_delay_alu instid0(VALU_DEP_2) | instskip(SKIP_4) | instid1(VALU_DEP_2)
	v_pack_b32_f16 v3, v4, v6
	ds_store_2addr_b32 v114, v2, v3 offset0:136 offset1:244
	v_add_co_u32 v2, vcc_lo, v0, s2
	s_wait_alu 0xfffd
	v_add_co_ci_u32_e32 v3, vcc_lo, s3, v1, vcc_lo
	v_add_co_u32 v0, vcc_lo, v2, s8
	s_wait_alu 0xfffd
	s_delay_alu instid0(VALU_DEP_2) | instskip(NEXT) | instid1(VALU_DEP_2)
	v_add_co_ci_u32_e32 v1, vcc_lo, s9, v3, vcc_lo
	v_add_co_u32 v4, vcc_lo, v0, s2
	s_wait_alu 0xfffd
	s_delay_alu instid0(VALU_DEP_2) | instskip(NEXT) | instid1(VALU_DEP_2)
	v_add_co_ci_u32_e32 v5, vcc_lo, s3, v1, vcc_lo
	v_add_co_u32 v6, vcc_lo, v4, s2
	global_load_b32 v4, v[4:5], off
	s_wait_alu 0xfffd
	v_add_co_ci_u32_e32 v7, vcc_lo, s3, v5, vcc_lo
	v_lshrrev_b32_e32 v5, 16, v8
	s_delay_alu instid0(VALU_DEP_1) | instskip(SKIP_1) | instid1(VALU_DEP_1)
	v_fma_f16 v9, v14, v5, -v9
	v_mul_f16_e32 v5, v10, v5
	v_fmac_f16_e32 v5, v14, v8
	v_lshrrev_b32_e32 v14, 16, v13
	s_clause 0x1
	scratch_store_b32 off, v13, off offset:32
	scratch_store_b32 off, v14, off offset:36
	s_wait_loadcnt 0x0
	v_lshrrev_b32_e32 v8, 16, v4
	v_mul_f16_e32 v10, v14, v4
	s_delay_alu instid0(VALU_DEP_1) | instskip(SKIP_1) | instid1(VALU_DEP_1)
	v_fma_f16 v10, v13, v8, -v10
	v_mul_f16_e32 v8, v14, v8
	v_fmac_f16_e32 v8, v13, v4
	v_pack_b32_f16 v4, v5, v9
	v_lshrrev_b32_e32 v9, 16, v12
	scratch_store_b32 off, v12, off offset:24 ; 4-byte Folded Spill
	v_pack_b32_f16 v5, v8, v10
	v_add_nc_u32_e32 v8, 0x1c00, v151
	scratch_store_b32 off, v9, off offset:28 ; 4-byte Folded Spill
	ds_store_2addr_b32 v8, v4, v5 offset0:44 offset1:152
	global_load_b32 v4, v[2:3], off
	global_load_b32 v5, v[6:7], off
	v_lshrrev_b32_e32 v8, 16, v15
	v_add_co_u32 v2, vcc_lo, v6, s8
	s_wait_alu 0xfffd
	v_add_co_ci_u32_e32 v3, vcc_lo, s9, v7, vcc_lo
	s_clause 0x1
	scratch_store_b32 off, v15, off offset:48
	scratch_store_b32 off, v8, off offset:52
	s_wait_loadcnt 0x1
	v_lshrrev_b32_e32 v6, 16, v4
	v_mul_f16_e32 v7, v8, v4
	s_delay_alu instid0(VALU_DEP_1) | instskip(SKIP_3) | instid1(VALU_DEP_2)
	v_fma_f16 v7, v15, v6, -v7
	v_mul_f16_e32 v6, v8, v6
	s_wait_loadcnt 0x0
	v_mul_f16_e32 v8, v9, v5
	v_fmac_f16_e32 v6, v15, v4
	v_lshrrev_b32_e32 v4, 16, v5
	s_delay_alu instid0(VALU_DEP_1) | instskip(SKIP_1) | instid1(VALU_DEP_1)
	v_fma_f16 v8, v12, v4, -v8
	v_mul_f16_e32 v4, v9, v4
	v_fmac_f16_e32 v4, v12, v5
	v_pack_b32_f16 v5, v6, v7
	v_add_nc_u32_e32 v6, 0x2c00, v151
	s_delay_alu instid0(VALU_DEP_3)
	v_pack_b32_f16 v4, v4, v8
	ds_store_2addr_b32 v6, v5, v4 offset0:100 offset1:208
	global_load_b32 v4, v[0:1], off
	v_add_co_u32 v0, vcc_lo, v2, s2
	global_load_b32 v2, v[2:3], off
	global_load_b32 v6, v151, s[4:5] offset:3456
	s_wait_alu 0xfffd
	v_add_co_ci_u32_e32 v1, vcc_lo, s3, v3, vcc_lo
	s_wait_loadcnt 0x2
	v_lshrrev_b32_e32 v3, 16, v4
	s_wait_loadcnt 0x0
	v_lshrrev_b32_e32 v7, 16, v6
	s_clause 0x1
	scratch_store_b32 off, v6, off offset:40
	scratch_store_b32 off, v7, off offset:44
	v_mul_f16_e32 v5, v7, v4
	s_delay_alu instid0(VALU_DEP_1) | instskip(SKIP_2) | instid1(VALU_DEP_2)
	v_fma_f16 v5, v6, v3, -v5
	v_mul_f16_e32 v3, v7, v3
	v_lshrrev_b32_e32 v7, 16, v18
	v_fmac_f16_e32 v3, v6, v4
	v_lshrrev_b32_e32 v4, 16, v2
	s_delay_alu instid0(VALU_DEP_3) | instskip(SKIP_3) | instid1(VALU_DEP_1)
	v_mul_f16_e32 v6, v7, v2
	scratch_store_b32 off, v7, off offset:20 ; 4-byte Folded Spill
	v_fma_f16 v6, v18, v4, -v6
	v_mul_f16_e32 v4, v7, v4
	v_fmac_f16_e32 v4, v18, v2
	v_pack_b32_f16 v2, v3, v5
	v_lshrrev_b32_e32 v5, 16, v11
	s_delay_alu instid0(VALU_DEP_3)
	v_pack_b32_f16 v3, v4, v6
	v_lshrrev_b32_e32 v4, 16, v17
	scratch_store_b32 off, v18, off offset:16 ; 4-byte Folded Spill
	ds_store_2addr_b32 v89, v2, v3 offset0:96 offset1:204
	v_add_co_u32 v2, vcc_lo, v0, s2
	s_wait_alu 0xfffd
	v_add_co_ci_u32_e32 v3, vcc_lo, s3, v1, vcc_lo
	global_load_b32 v0, v[0:1], off
	global_load_b32 v1, v[2:3], off
	s_clause 0x3
	scratch_store_b32 off, v4, off offset:12
	scratch_store_b32 off, v11, off
	scratch_store_b32 off, v5, off offset:4
	scratch_store_b32 off, v17, off offset:8
	v_cmp_gt_u16_e32 vcc_lo, 0x5a, v28
	s_wait_loadcnt 0x1
	v_lshrrev_b32_e32 v2, 16, v0
	v_mul_f16_e32 v3, v4, v0
	s_delay_alu instid0(VALU_DEP_1) | instskip(SKIP_3) | instid1(VALU_DEP_2)
	v_fma_f16 v3, v17, v2, -v3
	v_mul_f16_e32 v2, v4, v2
	s_wait_loadcnt 0x0
	v_mul_f16_e32 v4, v5, v1
	v_fmac_f16_e32 v2, v17, v0
	v_lshrrev_b32_e32 v0, 16, v1
	s_delay_alu instid0(VALU_DEP_1) | instskip(SKIP_1) | instid1(VALU_DEP_1)
	v_fma_f16 v4, v11, v0, -v4
	v_mul_f16_e32 v0, v5, v0
	v_fmac_f16_e32 v0, v11, v1
	v_pack_b32_f16 v1, v2, v3
	s_delay_alu instid0(VALU_DEP_2)
	v_pack_b32_f16 v0, v0, v4
	ds_store_b32 v151, v1 offset:8208
	ds_store_b32 v151, v0 offset:12528
	s_load_b128 s[8:11], s[10:11], 0x0
	global_wb scope:SCOPE_SE
	s_wait_storecnt_dscnt 0x0
	s_wait_kmcnt 0x0
	s_barrier_signal -1
	s_barrier_wait -1
	global_inv scope:SCOPE_SE
	ds_load_2addr_b32 v[0:1], v160 offset0:56 offset1:164
	ds_load_2addr_b32 v[2:3], v159 offset0:112 offset1:220
	ds_load_2addr_b32 v[4:5], v151 offset1:108
	s_mul_u64 s[14:15], s[8:9], 0x10e0
	s_wait_dscnt 0x2
	v_lshrrev_b32_e32 v8, 16, v1
	s_wait_dscnt 0x1
	v_add_f16_e32 v6, v1, v3
	v_lshrrev_b32_e32 v16, 16, v3
	s_wait_dscnt 0x0
	v_add_f16_e32 v7, v5, v1
	v_lshrrev_b32_e32 v12, 16, v5
	v_sub_f16_e32 v1, v1, v3
	v_fmac_f16_e32 v5, -0.5, v6
	v_add_f16_e32 v6, v8, v16
	v_add_f16_e32 v10, v4, v0
	;; [unrolled: 1-line block ×4, first 2 shown]
	v_lshrrev_b32_e32 v11, 16, v0
	v_fmac_f16_e32 v12, -0.5, v6
	v_sub_f16_e32 v6, v8, v16
	v_sub_f16_e32 v0, v0, v2
	v_add_f16_e32 v29, v7, v3
	v_fma_f16 v3, -0.5, v9, v4
	v_fmamk_f16 v27, v1, 0xbaee, v12
	v_fmamk_f16 v20, v6, 0x3aee, v5
	v_fmac_f16_e32 v5, 0xbaee, v6
	v_fmac_f16_e32 v12, 0x3aee, v1
	v_add_f16_e32 v1, v10, v2
	v_lshrrev_b32_e32 v2, 16, v2
	v_lshrrev_b32_e32 v4, 16, v4
	v_add_f16_e32 v16, v19, v16
	v_pack_b32_f16 v30, v5, v12
	v_pack_b32_f16 v19, v20, v27
	v_add_f16_e32 v5, v11, v2
	v_add_co_u32 v20, null, 0x6c, v153
	v_add_f16_e32 v6, v4, v11
	v_pack_b32_f16 v16, v29, v16
	s_delay_alu instid0(VALU_DEP_4) | instskip(SKIP_3) | instid1(VALU_DEP_3)
	v_fmac_f16_e32 v4, -0.5, v5
	v_sub_f16_e32 v5, v11, v2
	v_mul_u32_u24_e32 v27, 3, v20
	v_add_f16_e32 v2, v6, v2
	v_fmamk_f16 v6, v5, 0x3aee, v3
	v_fmac_f16_e32 v3, 0xbaee, v5
	v_fmamk_f16 v5, v0, 0xbaee, v4
	v_fmac_f16_e32 v4, 0x3aee, v0
	v_mul_lo_u16 v0, v28, 3
	v_lshlrev_b32_e32 v27, 2, v27
	v_pack_b32_f16 v31, v1, v2
	v_pack_b32_f16 v32, v6, v5
	;; [unrolled: 1-line block ×3, first 2 shown]
	v_and_b32_e32 v0, 0xffff, v0
	v_dual_mov_b32 v36, v27 :: v_dual_add_nc_u32 v147, 0x2400, v151
	v_add_nc_u32_e32 v112, 0x1600, v151
	v_add_nc_u32_e32 v223, 0x1a00, v151
	s_delay_alu instid0(VALU_DEP_4)
	v_lshlrev_b32_e32 v35, 2, v0
	v_add_nc_u32_e32 v93, 0x2a00, v151
	v_add_nc_u32_e32 v136, 0x1e00, v151
	;; [unrolled: 1-line block ×3, first 2 shown]
	ds_load_2addr_b32 v[0:1], v111 offset0:16 offset1:124
	ds_load_2addr_b32 v[2:3], v147 offset0:72 offset1:180
	;; [unrolled: 1-line block ×12, first 2 shown]
	global_wb scope:SCOPE_SE
	s_wait_dscnt 0x0
	s_barrier_signal -1
	s_barrier_wait -1
	global_inv scope:SCOPE_SE
	ds_store_2addr_b32 v35, v31, v32 offset1:1
	ds_store_b32 v35, v33 offset:8
	ds_store_2addr_b32 v27, v16, v19 offset1:1
	ds_store_b32 v36, v30 offset:8
	v_lshrrev_b32_e32 v27, 16, v1
	v_add_f16_e32 v16, v1, v3
	v_add_f16_e32 v19, v5, v1
	v_lshrrev_b32_e32 v33, 16, v5
	scratch_store_b32 off, v35, off offset:248 ; 4-byte Folded Spill
	v_sub_f16_e32 v1, v1, v3
	v_fmac_f16_e32 v5, -0.5, v16
	v_lshrrev_b32_e32 v16, 16, v3
	v_add_f16_e32 v31, v4, v0
	v_add_f16_e32 v35, v33, v27
	;; [unrolled: 1-line block ×3, first 2 shown]
	v_lshrrev_b32_e32 v32, 16, v0
	v_add_f16_e32 v34, v27, v16
	v_sub_f16_e32 v27, v27, v16
	v_sub_f16_e32 v0, v0, v2
	v_add_f16_e32 v3, v19, v3
	v_fma_f16 v19, -0.5, v29, v4
	v_fmac_f16_e32 v33, -0.5, v34
	v_fmamk_f16 v34, v27, 0x3aee, v5
	v_fmac_f16_e32 v5, 0xbaee, v27
	v_lshrrev_b32_e32 v4, 16, v4
	v_add_co_u32 v30, null, 0x144, v153
	v_fmamk_f16 v27, v1, 0xbaee, v33
	v_fmac_f16_e32 v33, 0x3aee, v1
	v_add_f16_e32 v1, v31, v2
	v_lshrrev_b32_e32 v2, 16, v2
	v_add_f16_e32 v31, v4, v32
	s_delay_alu instid0(VALU_DEP_4) | instskip(NEXT) | instid1(VALU_DEP_3)
	v_pack_b32_f16 v5, v5, v33
	v_add_f16_e32 v29, v32, v2
	s_delay_alu instid0(VALU_DEP_1) | instskip(SKIP_2) | instid1(VALU_DEP_2)
	v_fmac_f16_e32 v4, -0.5, v29
	v_sub_f16_e32 v29, v32, v2
	v_add_f16_e32 v2, v31, v2
	v_fmamk_f16 v31, v29, 0x3aee, v19
	v_fmac_f16_e32 v19, 0xbaee, v29
	v_fmamk_f16 v29, v0, 0xbaee, v4
	v_fmac_f16_e32 v4, 0x3aee, v0
	v_pack_b32_f16 v0, v1, v2
	s_delay_alu instid0(VALU_DEP_3) | instskip(SKIP_1) | instid1(VALU_DEP_4)
	v_pack_b32_f16 v1, v31, v29
	v_add_co_u32 v29, null, 0xd8, v153
	v_pack_b32_f16 v2, v19, v4
	v_lshrrev_b32_e32 v19, 16, v15
	s_delay_alu instid0(VALU_DEP_3) | instskip(NEXT) | instid1(VALU_DEP_1)
	v_mul_u32_u24_e32 v4, 3, v29
	v_lshlrev_b32_e32 v4, 2, v4
	s_clause 0x1
	scratch_store_b32 off, v36, off offset:252
	scratch_store_b32 off, v4, off offset:256
	ds_store_2addr_b32 v4, v0, v1 offset1:1
	ds_store_b32 v4, v2 offset:8
	v_add_f16_e32 v0, v35, v16
	v_mul_u32_u24_e32 v2, 3, v30
	v_pack_b32_f16 v1, v34, v27
	v_add_f16_e32 v4, v7, v9
	v_lshrrev_b32_e32 v16, 16, v7
	v_pack_b32_f16 v0, v3, v0
	v_lshlrev_b32_e32 v2, 2, v2
	v_sub_f16_e32 v3, v6, v8
	s_delay_alu instid0(VALU_DEP_4) | instskip(NEXT) | instid1(VALU_DEP_3)
	v_add_f16_e32 v31, v19, v16
	v_mov_b32_e32 v33, v2
	ds_store_2addr_b32 v2, v0, v1 offset1:1
	v_lshrrev_b32_e32 v0, 16, v6
	v_add_f16_e32 v1, v14, v6
	v_add_f16_e32 v2, v6, v8
	ds_store_b32 v33, v5 offset:8
	v_add_f16_e32 v6, v15, v7
	v_fmac_f16_e32 v15, -0.5, v4
	v_lshrrev_b32_e32 v4, 16, v9
	v_sub_f16_e32 v7, v7, v9
	v_fma_f16 v2, -0.5, v2, v14
	v_add_f16_e32 v6, v6, v9
	v_lshrrev_b32_e32 v9, 16, v14
	v_add_f16_e32 v27, v16, v4
	v_sub_f16_e32 v16, v16, v4
	v_add_f16_e32 v1, v1, v8
	v_add_f16_e32 v5, v11, v13
	s_delay_alu instid0(VALU_DEP_4) | instskip(NEXT) | instid1(VALU_DEP_4)
	v_fmac_f16_e32 v19, -0.5, v27
	v_fmamk_f16 v27, v16, 0x3aee, v15
	v_fmac_f16_e32 v15, 0xbaee, v16
	v_add_co_u32 v16, null, 0x1b0, v153
	s_delay_alu instid0(VALU_DEP_4) | instskip(SKIP_2) | instid1(VALU_DEP_2)
	v_fmamk_f16 v32, v7, 0xbaee, v19
	v_fmac_f16_e32 v19, 0x3aee, v7
	v_lshrrev_b32_e32 v7, 16, v8
	v_pack_b32_f16 v8, v15, v19
	s_delay_alu instid0(VALU_DEP_2) | instskip(SKIP_2) | instid1(VALU_DEP_3)
	v_add_f16_e32 v14, v0, v7
	v_add_f16_e32 v15, v9, v0
	v_sub_f16_e32 v0, v0, v7
	v_fmac_f16_e32 v9, -0.5, v14
	s_delay_alu instid0(VALU_DEP_3) | instskip(NEXT) | instid1(VALU_DEP_3)
	v_add_f16_e32 v7, v15, v7
	v_fmamk_f16 v14, v0, 0x3aee, v2
	v_fmac_f16_e32 v2, 0xbaee, v0
	s_delay_alu instid0(VALU_DEP_4)
	v_fmamk_f16 v0, v3, 0xbaee, v9
	v_fmac_f16_e32 v9, 0x3aee, v3
	v_mul_u32_u24_e32 v3, 3, v16
	v_pack_b32_f16 v1, v1, v7
	v_lshrrev_b32_e32 v7, 16, v11
	v_pack_b32_f16 v0, v14, v0
	v_pack_b32_f16 v2, v2, v9
	v_lshlrev_b32_e32 v3, 2, v3
	scratch_store_b32 off, v33, off offset:264 ; 4-byte Folded Spill
	v_sub_f16_e32 v9, v11, v13
	ds_store_2addr_b32 v3, v1, v0 offset1:1
	ds_store_b32 v3, v2 offset:8
	v_add_co_u32 v2, null, 0x21c, v153
	scratch_store_b32 off, v3, off offset:260 ; 4-byte Folded Spill
	v_add_f16_e32 v0, v31, v4
	v_pack_b32_f16 v1, v27, v32
	v_mul_u32_u24_e32 v3, 3, v2
	v_add_f16_e32 v4, v17, v10
	v_and_b32_e32 v32, 0xffff, v29
	v_pack_b32_f16 v0, v6, v0
	v_add_f16_e32 v6, v18, v11
	v_lshlrev_b32_e32 v3, 2, v3
	v_add_f16_e32 v4, v4, v12
	v_and_b32_e32 v31, 0xffff, v30
	s_delay_alu instid0(VALU_DEP_4)
	v_add_f16_e32 v6, v6, v13
	ds_store_2addr_b32 v3, v0, v1 offset1:1
	v_mov_b32_e32 v19, v3
	v_lshrrev_b32_e32 v0, 16, v10
	v_add_f16_e32 v1, v10, v12
	v_sub_f16_e32 v3, v10, v12
	v_lshrrev_b32_e32 v10, 16, v18
	v_fmac_f16_e32 v18, -0.5, v5
	v_lshrrev_b32_e32 v5, 16, v13
	v_fma_f16 v1, -0.5, v1, v17
	ds_store_b32 v19, v8 offset:8
	v_add_f16_e32 v14, v10, v7
	v_add_co_u32 v8, null, 0x288, v153
	v_add_f16_e32 v11, v7, v5
	v_sub_f16_e32 v7, v7, v5
	scratch_store_b32 off, v19, off offset:272 ; 4-byte Folded Spill
	v_fmac_f16_e32 v10, -0.5, v11
	v_fmamk_f16 v11, v7, 0x3aee, v18
	v_fmac_f16_e32 v18, 0xbaee, v7
	s_delay_alu instid0(VALU_DEP_3) | instskip(SKIP_3) | instid1(VALU_DEP_3)
	v_fmamk_f16 v7, v9, 0xbaee, v10
	v_fmac_f16_e32 v10, 0x3aee, v9
	v_lshrrev_b32_e32 v9, 16, v12
	v_lshrrev_b32_e32 v12, 16, v17
	v_pack_b32_f16 v10, v18, v10
	s_delay_alu instid0(VALU_DEP_3) | instskip(NEXT) | instid1(VALU_DEP_3)
	v_add_f16_e32 v13, v0, v9
	v_add_f16_e32 v15, v12, v0
	v_sub_f16_e32 v0, v0, v9
	s_delay_alu instid0(VALU_DEP_3) | instskip(NEXT) | instid1(VALU_DEP_3)
	v_fmac_f16_e32 v12, -0.5, v13
	v_add_f16_e32 v9, v15, v9
	s_delay_alu instid0(VALU_DEP_3)
	v_fmamk_f16 v13, v0, 0x3aee, v1
	v_fmac_f16_e32 v1, 0xbaee, v0
	v_lshrrev_b32_e32 v15, 16, v23
	v_fmamk_f16 v0, v3, 0xbaee, v12
	v_fmac_f16_e32 v12, 0x3aee, v3
	v_pack_b32_f16 v3, v4, v9
	v_mul_u32_u24_e32 v4, 3, v8
	v_add_co_u32 v9, null, 0x2f4, v153
	v_pack_b32_f16 v0, v13, v0
	v_pack_b32_f16 v1, v1, v12
	s_delay_alu instid0(VALU_DEP_4)
	v_lshlrev_b32_e32 v4, 2, v4
	v_lshrrev_b32_e32 v12, 16, v24
	ds_store_2addr_b32 v4, v3, v0 offset1:1
	ds_store_b32 v4, v1 offset:8
	v_add_f16_e32 v0, v14, v5
	v_mul_u32_u24_e32 v3, 3, v9
	v_pack_b32_f16 v1, v11, v7
	v_add_f16_e32 v5, v22, v26
	v_sub_f16_e32 v11, v22, v26
	v_pack_b32_f16 v0, v6, v0
	v_lshlrev_b32_e32 v3, 2, v3
	v_add_f16_e32 v6, v24, v22
	v_fmac_f16_e32 v24, -0.5, v5
	v_lshrrev_b32_e32 v5, 16, v26
	scratch_store_b32 off, v4, off offset:268 ; 4-byte Folded Spill
	v_mov_b32_e32 v19, v3
	ds_store_2addr_b32 v3, v0, v1 offset1:1
	v_lshrrev_b32_e32 v1, 16, v22
	v_lshrrev_b32_e32 v0, 16, v21
	v_add_f16_e32 v4, v21, v25
	ds_store_b32 v19, v10 offset:8
	v_sub_f16_e32 v7, v21, v25
	v_add_f16_e32 v13, v1, v5
	v_add_f16_e32 v14, v12, v1
	v_sub_f16_e32 v1, v1, v5
	v_fma_f16 v4, -0.5, v4, v23
	v_add_f16_e32 v18, v15, v0
	v_fmac_f16_e32 v12, -0.5, v13
	v_add_f16_e32 v3, v23, v21
	v_fmamk_f16 v13, v1, 0x3aee, v24
	v_fmac_f16_e32 v24, 0xbaee, v1
	v_add_f16_e32 v6, v6, v26
	v_fmamk_f16 v1, v11, 0xbaee, v12
	v_fmac_f16_e32 v12, 0x3aee, v11
	v_lshrrev_b32_e32 v11, 16, v25
	v_add_f16_e32 v3, v3, v25
	v_and_b32_e32 v21, 0xff, v20
	v_pack_b32_f16 v1, v13, v1
	v_pack_b32_f16 v12, v24, v12
	v_add_f16_e32 v17, v0, v11
	v_sub_f16_e32 v0, v0, v11
	v_add_f16_e32 v11, v18, v11
	v_and_b32_e32 v18, 0xff, v28
	s_delay_alu instid0(VALU_DEP_4) | instskip(NEXT) | instid1(VALU_DEP_4)
	v_fmac_f16_e32 v15, -0.5, v17
	v_fmamk_f16 v17, v0, 0x3aee, v4
	v_fmac_f16_e32 v4, 0xbaee, v0
	v_pack_b32_f16 v3, v3, v11
	s_delay_alu instid0(VALU_DEP_4) | instskip(SKIP_2) | instid1(VALU_DEP_3)
	v_fmamk_f16 v0, v7, 0xbaee, v15
	v_fmac_f16_e32 v15, 0x3aee, v7
	v_add_co_u32 v7, null, 0x360, v153
	v_pack_b32_f16 v0, v17, v0
	s_delay_alu instid0(VALU_DEP_3) | instskip(NEXT) | instid1(VALU_DEP_3)
	v_pack_b32_f16 v4, v4, v15
	v_mul_u32_u24_e32 v10, 3, v7
	s_delay_alu instid0(VALU_DEP_1)
	v_lshlrev_b32_e32 v10, 2, v10
	ds_store_2addr_b32 v10, v3, v0 offset1:1
	ds_store_b32 v10, v4 offset:8
	v_add_f16_e32 v0, v14, v5
	scratch_store_b32 off, v10, off offset:284 ; 4-byte Folded Spill
	v_pack_b32_f16 v0, v6, v0
	v_add_co_u32 v6, null, 0x3cc, v153
	s_delay_alu instid0(VALU_DEP_1) | instskip(NEXT) | instid1(VALU_DEP_1)
	v_mul_u32_u24_e32 v3, 3, v6
	v_lshlrev_b32_e32 v3, 2, v3
	s_clause 0x1
	scratch_store_b32 off, v19, off offset:280
	scratch_store_b32 off, v3, off offset:276
	ds_store_2addr_b32 v3, v0, v1 offset1:1
	ds_store_b32 v3, v12 offset:8
	v_and_b32_e32 v0, 0xffff, v2
	global_wb scope:SCOPE_SE
	s_wait_storecnt_dscnt 0x0
	s_barrier_signal -1
	s_barrier_wait -1
	global_inv scope:SCOPE_SE
	v_mul_u32_u24_e32 v0, 0xaaab, v0
	s_delay_alu instid0(VALU_DEP_1) | instskip(NEXT) | instid1(VALU_DEP_1)
	v_lshrrev_b32_e32 v4, 17, v0
	v_mul_lo_u16 v0, v4, 3
	s_delay_alu instid0(VALU_DEP_1) | instskip(SKIP_1) | instid1(VALU_DEP_2)
	v_sub_nc_u16 v5, v2, v0
	v_and_b32_e32 v0, 0xffff, v8
	v_mad_u16 v4, v4, 9, v5
	s_delay_alu instid0(VALU_DEP_2) | instskip(NEXT) | instid1(VALU_DEP_2)
	v_mul_u32_u24_e32 v0, 0xaaab, v0
	v_and_b32_e32 v4, 0xffff, v4
	s_delay_alu instid0(VALU_DEP_2) | instskip(NEXT) | instid1(VALU_DEP_2)
	v_lshrrev_b32_e32 v2, 17, v0
	v_lshlrev_b32_e32 v4, 2, v4
	s_delay_alu instid0(VALU_DEP_2) | instskip(NEXT) | instid1(VALU_DEP_1)
	v_mul_lo_u16 v0, v2, 3
	v_sub_nc_u16 v3, v8, v0
	v_mul_lo_u16 v8, 0xab, v18
	v_and_b32_e32 v0, 0xffff, v9
	s_delay_alu instid0(VALU_DEP_3) | instskip(NEXT) | instid1(VALU_DEP_3)
	v_mad_u16 v2, v2, 9, v3
	v_lshrrev_b16 v10, 9, v8
	v_mul_lo_u16 v8, 0xab, v21
	s_delay_alu instid0(VALU_DEP_4) | instskip(NEXT) | instid1(VALU_DEP_4)
	v_mul_u32_u24_e32 v0, 0xaaab, v0
	v_and_b32_e32 v2, 0xffff, v2
	s_delay_alu instid0(VALU_DEP_3) | instskip(SKIP_1) | instid1(VALU_DEP_4)
	v_lshrrev_b16 v19, 9, v8
	v_mul_lo_u16 v8, v10, 3
	v_lshrrev_b32_e32 v0, 17, v0
	s_delay_alu instid0(VALU_DEP_4) | instskip(NEXT) | instid1(VALU_DEP_3)
	v_lshlrev_b32_e32 v2, 2, v2
	v_sub_nc_u16 v8, v28, v8
	s_delay_alu instid0(VALU_DEP_3) | instskip(NEXT) | instid1(VALU_DEP_2)
	v_mul_lo_u16 v1, v0, 3
	v_and_b32_e32 v11, 0xff, v8
	v_mul_u32_u24_e32 v8, 0xaaab, v32
	s_delay_alu instid0(VALU_DEP_3)
	v_sub_nc_u16 v1, v9, v1
	v_mul_lo_u16 v9, v19, 3
	v_and_b32_e32 v19, 0xffff, v19
	v_lshlrev_b32_e32 v12, 3, v11
	v_lshrrev_b32_e32 v42, 17, v8
	v_mul_u32_u24_e32 v8, 0xaaab, v31
	v_sub_nc_u16 v9, v20, v9
	v_mul_u32_u24_e32 v19, 9, v19
	global_load_b64 v[77:78], v12, s[6:7]
	v_mad_u16 v0, v0, 9, v1
	v_lshrrev_b32_e32 v43, 17, v8
	v_mul_lo_u16 v8, v42, 3
	v_and_b32_e32 v41, 0xff, v9
	s_delay_alu instid0(VALU_DEP_4) | instskip(NEXT) | instid1(VALU_DEP_3)
	v_and_b32_e32 v0, 0xffff, v0
	v_sub_nc_u16 v44, v29, v8
	v_mul_lo_u16 v8, v43, 3
	s_delay_alu instid0(VALU_DEP_4) | instskip(NEXT) | instid1(VALU_DEP_4)
	v_lshlrev_b32_e32 v12, 3, v41
	v_lshlrev_b32_e32 v0, 2, v0
	s_delay_alu instid0(VALU_DEP_3) | instskip(SKIP_1) | instid1(VALU_DEP_2)
	v_sub_nc_u16 v45, v30, v8
	v_lshlrev_b16 v8, 1, v44
	v_lshlrev_b16 v9, 1, v45
	s_delay_alu instid0(VALU_DEP_2) | instskip(NEXT) | instid1(VALU_DEP_2)
	v_and_b32_e32 v8, 0xffff, v8
	v_and_b32_e32 v9, 0xffff, v9
	s_delay_alu instid0(VALU_DEP_2) | instskip(NEXT) | instid1(VALU_DEP_2)
	v_lshlrev_b32_e32 v8, 2, v8
	v_lshlrev_b32_e32 v9, 2, v9
	s_clause 0x2
	global_load_b64 v[73:74], v12, s[6:7]
	global_load_b64 v[69:70], v8, s[6:7]
	;; [unrolled: 1-line block ×3, first 2 shown]
	ds_load_2addr_b32 v[8:9], v160 offset0:56 offset1:164
	s_wait_dscnt 0x0
	v_lshrrev_b32_e32 v12, 16, v8
	v_lshrrev_b32_e32 v14, 16, v9
	s_wait_loadcnt 0x3
	v_lshrrev_b32_e32 v17, 16, v77
	v_lshrrev_b32_e32 v33, 16, v78
	s_delay_alu instid0(VALU_DEP_2) | instskip(SKIP_1) | instid1(VALU_DEP_2)
	v_mul_f16_e32 v13, v12, v17
	v_mul_f16_e32 v17, v8, v17
	v_fma_f16 v13, v8, v77, -v13
	s_delay_alu instid0(VALU_DEP_2) | instskip(SKIP_3) | instid1(VALU_DEP_2)
	v_fmac_f16_e32 v17, v12, v77
	s_wait_loadcnt 0x2
	v_lshrrev_b32_e32 v22, 16, v73
	v_lshrrev_b32_e32 v27, 16, v74
	v_mul_f16_e32 v15, v14, v22
	v_mul_f16_e32 v22, v9, v22
	s_delay_alu instid0(VALU_DEP_2)
	v_fma_f16 v15, v9, v73, -v15
	ds_load_2addr_b32 v[8:9], v159 offset0:112 offset1:220
	v_fmac_f16_e32 v22, v14, v73
	s_wait_dscnt 0x0
	v_lshrrev_b32_e32 v23, 16, v8
	v_lshrrev_b32_e32 v25, 16, v9
	v_mul_f16_e32 v47, v9, v27
	s_delay_alu instid0(VALU_DEP_3) | instskip(NEXT) | instid1(VALU_DEP_3)
	v_mul_f16_e32 v24, v23, v33
	v_mul_f16_e32 v26, v25, v27
	s_delay_alu instid0(VALU_DEP_3) | instskip(NEXT) | instid1(VALU_DEP_3)
	v_fmac_f16_e32 v47, v25, v74
	v_fma_f16 v24, v8, v78, -v24
	s_delay_alu instid0(VALU_DEP_3) | instskip(SKIP_2) | instid1(VALU_DEP_4)
	v_fma_f16 v46, v9, v74, -v26
	v_mul_f16_e32 v26, v8, v33
	v_and_b32_e32 v8, 0xffff, v7
	v_sub_f16_e32 v59, v13, v24
	s_delay_alu instid0(VALU_DEP_4) | instskip(NEXT) | instid1(VALU_DEP_4)
	v_add_f16_e32 v9, v15, v46
	v_fmac_f16_e32 v26, v23, v78
	s_delay_alu instid0(VALU_DEP_4) | instskip(NEXT) | instid1(VALU_DEP_2)
	v_mul_u32_u24_e32 v8, 0xaaab, v8
	v_sub_f16_e32 v60, v17, v26
	s_delay_alu instid0(VALU_DEP_2) | instskip(NEXT) | instid1(VALU_DEP_1)
	v_lshrrev_b32_e32 v48, 17, v8
	v_mul_lo_u16 v8, v48, 3
	s_delay_alu instid0(VALU_DEP_1)
	v_sub_nc_u16 v49, v7, v8
	ds_load_2addr_b32 v[7:8], v151 offset1:108
	s_wait_dscnt 0x0
	v_lshrrev_b32_e32 v12, 16, v8
	v_add_f16_e32 v50, v8, v15
	v_fmac_f16_e32 v8, -0.5, v9
	v_add_f16_e32 v9, v22, v47
	v_lshrrev_b32_e32 v56, 16, v7
	v_add_f16_e32 v51, v12, v22
	s_delay_alu instid0(VALU_DEP_3) | instskip(SKIP_1) | instid1(VALU_DEP_3)
	v_fmac_f16_e32 v12, -0.5, v9
	v_sub_f16_e32 v9, v22, v47
	v_add_f16_e32 v47, v51, v47
	s_delay_alu instid0(VALU_DEP_2) | instskip(SKIP_4) | instid1(VALU_DEP_3)
	v_fmamk_f16 v52, v9, 0x3aee, v8
	v_fmac_f16_e32 v8, 0xbaee, v9
	v_sub_f16_e32 v9, v15, v46
	v_add_f16_e32 v46, v50, v46
	v_add_lshl_u32 v50, v19, v41, 2
	v_fmamk_f16 v53, v9, 0xbaee, v12
	v_fmac_f16_e32 v12, 0x3aee, v9
	v_add_f16_e32 v9, v13, v24
	v_pack_b32_f16 v19, v46, v47
	s_delay_alu instid0(VALU_DEP_4) | instskip(NEXT) | instid1(VALU_DEP_4)
	v_pack_b32_f16 v46, v52, v53
	v_pack_b32_f16 v55, v8, v12
	v_and_b32_e32 v8, 0xffff, v6
	v_fma_f16 v54, -0.5, v9, v7
	v_add_f16_e32 v7, v7, v13
	v_lshlrev_b16 v9, 1, v1
	s_wait_loadcnt 0x1
	v_lshrrev_b32_e32 v53, 16, v70
	v_mul_u32_u24_e32 v8, 0xaaab, v8
	s_delay_alu instid0(VALU_DEP_3) | instskip(NEXT) | instid1(VALU_DEP_2)
	v_dual_mov_b32 v52, v50 :: v_dual_and_b32 v9, 0xffff, v9
	v_lshrrev_b32_e32 v57, 17, v8
	s_delay_alu instid0(VALU_DEP_2) | instskip(NEXT) | instid1(VALU_DEP_2)
	v_lshlrev_b32_e32 v9, 2, v9
	v_mul_lo_u16 v8, v57, 3
	s_delay_alu instid0(VALU_DEP_1) | instskip(SKIP_4) | instid1(VALU_DEP_3)
	v_sub_nc_u16 v58, v6, v8
	v_add_f16_e32 v6, v7, v24
	v_add_f16_e32 v7, v56, v17
	;; [unrolled: 1-line block ×3, first 2 shown]
	v_and_b32_e32 v17, 0xffff, v16
	v_add_f16_e32 v7, v7, v26
	s_delay_alu instid0(VALU_DEP_3) | instskip(SKIP_2) | instid1(VALU_DEP_4)
	v_fmac_f16_e32 v56, -0.5, v8
	v_and_b32_e32 v8, 0xffff, v10
	v_lshlrev_b16 v10, 1, v49
	v_pack_b32_f16 v61, v6, v7
	v_fmamk_f16 v6, v60, 0x3aee, v54
	v_fmamk_f16 v7, v59, 0xbaee, v56
	v_mul_u32_u24_e32 v8, 9, v8
	v_and_b32_e32 v10, 0xffff, v10
	v_fmac_f16_e32 v54, 0xbaee, v60
	v_fmac_f16_e32 v56, 0x3aee, v59
	v_pack_b32_f16 v62, v6, v7
	v_mul_u32_u24_e32 v6, 0xaaab, v17
	v_lshlrev_b16 v7, 1, v5
	v_add_lshl_u32 v85, v8, v11, 2
	v_lshlrev_b16 v8, 1, v3
	v_lshlrev_b16 v11, 1, v58
	v_lshrrev_b32_e32 v63, 17, v6
	v_and_b32_e32 v7, 0xffff, v7
	v_lshlrev_b32_e32 v10, 2, v10
	v_and_b32_e32 v8, 0xffff, v8
	v_and_b32_e32 v11, 0xffff, v11
	v_mul_lo_u16 v6, v63, 3
	v_lshlrev_b32_e32 v7, 2, v7
	v_pack_b32_f16 v41, v54, v56
	v_lshlrev_b32_e32 v8, 2, v8
	v_lshlrev_b32_e32 v11, 2, v11
	v_sub_nc_u16 v64, v16, v6
	s_delay_alu instid0(VALU_DEP_1) | instskip(NEXT) | instid1(VALU_DEP_1)
	v_lshlrev_b16 v6, 1, v64
	v_and_b32_e32 v6, 0xffff, v6
	s_delay_alu instid0(VALU_DEP_1)
	v_lshlrev_b32_e32 v6, 2, v6
	s_clause 0x5
	global_load_b64 v[83:84], v6, s[6:7]
	global_load_b64 v[81:82], v7, s[6:7]
	;; [unrolled: 1-line block ×6, first 2 shown]
	ds_load_2addr_b32 v[6:7], v113 offset0:88 offset1:196
	ds_load_2addr_b32 v[8:9], v111 offset0:16 offset1:124
	;; [unrolled: 1-line block ×12, first 2 shown]
	global_wb scope:SCOPE_SE
	s_wait_loadcnt_dscnt 0x0
	s_barrier_signal -1
	s_barrier_wait -1
	global_inv scope:SCOPE_SE
	scratch_store_b32 off, v85, off offset:288 ; 4-byte Folded Spill
	ds_store_2addr_b32 v85, v61, v62 offset1:3
	ds_store_b32 v85, v41 offset:24
	ds_store_2addr_b32 v50, v19, v46 offset1:3
	v_mad_u16 v19, v42, 9, v44
	v_lshrrev_b32_e32 v44, 16, v69
	v_lshrrev_b32_e32 v41, 16, v8
	v_mul_f16_e32 v46, v10, v53
	v_lshrrev_b32_e32 v47, 16, v6
	v_and_b32_e32 v19, 0xffff, v19
	v_mul_f16_e32 v42, v8, v44
	v_mov_b32_e32 v54, v44
	v_lshrrev_b32_e32 v44, 16, v10
	ds_store_b32 v52, v55 offset:24
	v_lshlrev_b32_e32 v19, 2, v19
	v_fmac_f16_e32 v42, v41, v69
	v_mul_f16_e32 v41, v41, v54
	v_fmac_f16_e32 v46, v44, v70
	v_mul_f16_e32 v44, v44, v53
	s_delay_alu instid0(VALU_DEP_4) | instskip(NEXT) | instid1(VALU_DEP_4)
	v_add_f16_e32 v50, v47, v42
	v_fma_f16 v8, v8, v69, -v41
	s_delay_alu instid0(VALU_DEP_4) | instskip(NEXT) | instid1(VALU_DEP_4)
	v_sub_f16_e32 v51, v42, v46
	v_fma_f16 v10, v10, v70, -v44
	v_add_f16_e32 v42, v42, v46
	v_add_f16_e32 v46, v50, v46
	v_add_f16_e32 v41, v6, v8
	s_delay_alu instid0(VALU_DEP_4) | instskip(SKIP_2) | instid1(VALU_DEP_4)
	v_add_f16_e32 v44, v8, v10
	v_sub_f16_e32 v8, v8, v10
	v_fmac_f16_e32 v47, -0.5, v42
	v_add_f16_e32 v41, v41, v10
	s_delay_alu instid0(VALU_DEP_4) | instskip(SKIP_1) | instid1(VALU_DEP_4)
	v_fma_f16 v6, -0.5, v44, v6
	v_lshrrev_b32_e32 v44, 16, v66
	v_fmamk_f16 v42, v8, 0xbaee, v47
	s_delay_alu instid0(VALU_DEP_4)
	v_pack_b32_f16 v10, v41, v46
	v_mov_b32_e32 v46, v19
	v_fmamk_f16 v41, v51, 0x3aee, v6
	v_fmac_f16_e32 v6, 0xbaee, v51
	v_fmac_f16_e32 v47, 0x3aee, v8
	scratch_store_b32 off, v52, off offset:292 ; 4-byte Folded Spill
	v_pack_b32_f16 v41, v41, v42
	v_pack_b32_f16 v6, v6, v47
	ds_store_2addr_b32 v19, v10, v41 offset1:3
	v_lshrrev_b32_e32 v10, 16, v9
	v_lshrrev_b32_e32 v41, 16, v65
	ds_store_b32 v46, v6 offset:24
	v_mad_u16 v6, v43, 9, v45
	v_mul_f16_e32 v19, v10, v41
	s_delay_alu instid0(VALU_DEP_2) | instskip(NEXT) | instid1(VALU_DEP_2)
	v_and_b32_e32 v6, 0xffff, v6
	v_fma_f16 v19, v9, v65, -v19
	v_mul_f16_e32 v9, v9, v41
	v_lshrrev_b32_e32 v41, 16, v11
	s_delay_alu instid0(VALU_DEP_4) | instskip(NEXT) | instid1(VALU_DEP_3)
	v_lshlrev_b32_e32 v6, 2, v6
	v_fmac_f16_e32 v9, v10, v65
	s_delay_alu instid0(VALU_DEP_3) | instskip(NEXT) | instid1(VALU_DEP_1)
	v_mul_f16_e32 v42, v41, v44
	v_fma_f16 v42, v11, v66, -v42
	v_mul_f16_e32 v11, v11, v44
	v_add_f16_e32 v44, v7, v19
	s_delay_alu instid0(VALU_DEP_3) | instskip(NEXT) | instid1(VALU_DEP_3)
	v_add_f16_e32 v10, v19, v42
	v_fmac_f16_e32 v11, v41, v66
	v_lshrrev_b32_e32 v41, 16, v7
	s_delay_alu instid0(VALU_DEP_3) | instskip(NEXT) | instid1(VALU_DEP_3)
	v_fmac_f16_e32 v7, -0.5, v10
	v_add_f16_e32 v10, v9, v11
	s_delay_alu instid0(VALU_DEP_3) | instskip(SKIP_1) | instid1(VALU_DEP_3)
	v_add_f16_e32 v8, v41, v9
	v_sub_f16_e32 v9, v9, v11
	v_fmac_f16_e32 v41, -0.5, v10
	s_delay_alu instid0(VALU_DEP_3)
	v_add_f16_e32 v8, v8, v11
	v_add_f16_e32 v10, v44, v42
	v_sub_f16_e32 v11, v19, v42
	v_mov_b32_e32 v42, v6
	scratch_store_b32 off, v46, off offset:296 ; 4-byte Folded Spill
	v_pack_b32_f16 v8, v10, v8
	v_fmamk_f16 v10, v9, 0x3aee, v7
	v_fmamk_f16 v19, v11, 0xbaee, v41
	v_fmac_f16_e32 v7, 0xbaee, v9
	v_fmac_f16_e32 v41, 0x3aee, v11
	v_lshrrev_b32_e32 v11, 16, v12
	s_delay_alu instid0(VALU_DEP_4)
	v_pack_b32_f16 v10, v10, v19
	ds_store_2addr_b32 v6, v8, v10 offset1:3
	v_pack_b32_f16 v6, v7, v41
	v_lshrrev_b32_e32 v7, 16, v14
	ds_store_b32 v42, v6 offset:24
	v_mad_u16 v6, v63, 9, v64
	s_delay_alu instid0(VALU_DEP_1) | instskip(NEXT) | instid1(VALU_DEP_1)
	v_and_b32_e32 v6, 0xffff, v6
	v_lshlrev_b32_e32 v6, 2, v6
	v_lshrrev_b32_e32 v9, 16, v83
	v_lshrrev_b32_e32 v43, 16, v84
	;; [unrolled: 1-line block ×3, first 2 shown]
	s_delay_alu instid0(VALU_DEP_3)
	v_mul_f16_e32 v8, v14, v9
	v_mov_b32_e32 v44, v9
	v_lshrrev_b32_e32 v9, 16, v22
	v_mul_f16_e32 v10, v22, v43
	v_lshrrev_b32_e32 v237, 16, v72
	v_fmac_f16_e32 v8, v7, v83
	v_mul_f16_e32 v7, v7, v44
	v_lshrrev_b32_e32 v235, 16, v67
	v_fmac_f16_e32 v10, v9, v84
	v_mul_f16_e32 v9, v9, v43
	v_add_f16_e32 v19, v11, v8
	v_fma_f16 v7, v14, v83, -v7
	v_lshrrev_b32_e32 v178, 16, v68
	v_add_f16_e32 v41, v8, v10
	v_fma_f16 v9, v22, v84, -v9
	v_sub_f16_e32 v8, v8, v10
	v_add_f16_e32 v14, v12, v7
	v_add_f16_e32 v10, v19, v10
	v_fmac_f16_e32 v11, -0.5, v41
	v_add_f16_e32 v19, v7, v9
	v_sub_f16_e32 v7, v7, v9
	v_add_f16_e32 v14, v14, v9
	v_mov_b32_e32 v22, v6
	scratch_store_b32 off, v42, off offset:300 ; 4-byte Folded Spill
	v_pack_b32_f16 v9, v14, v10
	v_fma_f16 v10, -0.5, v19, v12
	v_fmamk_f16 v14, v7, 0xbaee, v11
	v_lshrrev_b32_e32 v19, 16, v82
	v_fmac_f16_e32 v11, 0x3aee, v7
	v_lshrrev_b32_e32 v7, 16, v13
	v_fmamk_f16 v12, v8, 0x3aee, v10
	v_fmac_f16_e32 v10, 0xbaee, v8
	s_delay_alu instid0(VALU_DEP_2) | instskip(SKIP_1) | instid1(VALU_DEP_3)
	v_pack_b32_f16 v12, v12, v14
	v_lshrrev_b32_e32 v14, 16, v23
	v_pack_b32_f16 v10, v10, v11
	ds_store_2addr_b32 v6, v9, v12 offset1:3
	v_lshrrev_b32_e32 v6, 16, v15
	v_lshrrev_b32_e32 v12, 16, v81
	ds_store_b32 v22, v10 offset:24
	v_mul_f16_e32 v9, v6, v12
	v_mul_f16_e32 v12, v15, v12
	s_delay_alu instid0(VALU_DEP_2) | instskip(SKIP_2) | instid1(VALU_DEP_4)
	v_fma_f16 v9, v15, v81, -v9
	v_mul_f16_e32 v15, v14, v19
	v_mul_f16_e32 v19, v23, v19
	v_fmac_f16_e32 v12, v6, v81
	s_delay_alu instid0(VALU_DEP_4) | instskip(NEXT) | instid1(VALU_DEP_4)
	v_add_f16_e32 v8, v13, v9
	v_fma_f16 v15, v23, v82, -v15
	s_delay_alu instid0(VALU_DEP_4) | instskip(NEXT) | instid1(VALU_DEP_2)
	v_fmac_f16_e32 v19, v14, v82
	v_add_f16_e32 v6, v9, v15
	s_delay_alu instid0(VALU_DEP_2) | instskip(SKIP_2) | instid1(VALU_DEP_4)
	v_add_f16_e32 v14, v12, v19
	v_add_f16_e32 v8, v8, v15
	v_sub_f16_e32 v9, v9, v15
	v_fmac_f16_e32 v13, -0.5, v6
	v_add_f16_e32 v6, v7, v12
	v_sub_f16_e32 v12, v12, v19
	v_fmac_f16_e32 v7, -0.5, v14
	v_mov_b32_e32 v14, v4
	scratch_store_b32 off, v22, off offset:304 ; 4-byte Folded Spill
	v_add_f16_e32 v6, v6, v19
	s_delay_alu instid0(VALU_DEP_1)
	v_pack_b32_f16 v5, v8, v6
	v_fmamk_f16 v6, v12, 0x3aee, v13
	v_fmamk_f16 v8, v9, 0xbaee, v7
	v_fmac_f16_e32 v13, 0xbaee, v12
	v_fmac_f16_e32 v7, 0x3aee, v9
	v_lshrrev_b32_e32 v12, 16, v80
	v_lshrrev_b32_e32 v9, 16, v24
	v_pack_b32_f16 v6, v6, v8
	s_delay_alu instid0(VALU_DEP_3)
	v_mul_f16_e32 v8, v33, v12
	ds_store_2addr_b32 v4, v5, v6 offset1:3
	v_pack_b32_f16 v4, v13, v7
	v_lshrrev_b32_e32 v7, 16, v79
	v_lshrrev_b32_e32 v5, 16, v26
	ds_store_b32 v14, v4 offset:24
	v_mul_f16_e32 v6, v26, v7
	v_mov_b32_e32 v13, v7
	v_lshrrev_b32_e32 v7, 16, v33
	s_delay_alu instid0(VALU_DEP_3) | instskip(NEXT) | instid1(VALU_DEP_3)
	v_fmac_f16_e32 v6, v5, v79
	v_mul_f16_e32 v5, v5, v13
	s_delay_alu instid0(VALU_DEP_3)
	v_fmac_f16_e32 v8, v7, v80
	v_mul_f16_e32 v7, v7, v12
	v_mov_b32_e32 v12, v2
	scratch_store_b32 off, v14, off offset:308 ; 4-byte Folded Spill
	v_add_f16_e32 v10, v9, v6
	v_add_f16_e32 v11, v6, v8
	v_fma_f16 v5, v26, v79, -v5
	v_fma_f16 v7, v33, v80, -v7
	v_sub_f16_e32 v6, v6, v8
	v_add_f16_e32 v8, v10, v8
	v_fmac_f16_e32 v9, -0.5, v11
	v_add_f16_e32 v10, v24, v5
	v_add_f16_e32 v11, v5, v7
	v_sub_f16_e32 v5, v5, v7
	s_delay_alu instid0(VALU_DEP_3) | instskip(NEXT) | instid1(VALU_DEP_3)
	v_add_f16_e32 v10, v10, v7
	v_fma_f16 v4, -0.5, v11, v24
	v_lshrrev_b32_e32 v11, 16, v76
	s_delay_alu instid0(VALU_DEP_3) | instskip(NEXT) | instid1(VALU_DEP_3)
	v_pack_b32_f16 v3, v10, v8
	v_fmamk_f16 v7, v6, 0x3aee, v4
	v_fmamk_f16 v8, v5, 0xbaee, v9
	v_fmac_f16_e32 v9, 0x3aee, v5
	v_lshrrev_b32_e32 v5, 16, v25
	v_fmac_f16_e32 v4, 0xbaee, v6
	s_delay_alu instid0(VALU_DEP_4) | instskip(SKIP_1) | instid1(VALU_DEP_3)
	v_pack_b32_f16 v7, v7, v8
	v_lshrrev_b32_e32 v8, 16, v34
	v_pack_b32_f16 v4, v4, v9
	v_mul_f16_e64 v9, v40, v178
	ds_store_2addr_b32 v2, v3, v7 offset1:3
	v_lshrrev_b32_e32 v2, 16, v27
	v_lshrrev_b32_e32 v7, 16, v75
	v_mul_f16_e32 v10, v8, v11
	v_mul_f16_e32 v11, v34, v11
	ds_store_b32 v12, v4 offset:24
	v_mul_f16_e32 v3, v2, v7
	v_mul_f16_e32 v7, v27, v7
	v_fma_f16 v10, v34, v76, -v10
	v_fmac_f16_e32 v11, v8, v76
	s_delay_alu instid0(VALU_DEP_4) | instskip(NEXT) | instid1(VALU_DEP_4)
	v_fma_f16 v3, v27, v75, -v3
	v_fmac_f16_e32 v7, v2, v75
	s_delay_alu instid0(VALU_DEP_2) | instskip(SKIP_1) | instid1(VALU_DEP_3)
	v_add_f16_e32 v2, v3, v10
	v_add_f16_e32 v6, v25, v3
	;; [unrolled: 1-line block ×3, first 2 shown]
	v_sub_f16_e32 v3, v3, v10
	s_delay_alu instid0(VALU_DEP_4)
	v_fmac_f16_e32 v25, -0.5, v2
	v_add_f16_e32 v2, v5, v7
	v_sub_f16_e32 v7, v7, v11
	v_fmac_f16_e32 v5, -0.5, v8
	v_add_f16_e32 v6, v6, v10
	v_mov_b32_e32 v8, v0
	scratch_store_b32 off, v12, off offset:312 ; 4-byte Folded Spill
	v_add_f16_e32 v2, v2, v11
	v_fmamk_f16 v4, v3, 0xbaee, v5
	v_fmac_f16_e32 v5, 0x3aee, v3
	scratch_store_b32 off, v8, off offset:316 ; 4-byte Folded Spill
	v_lshrrev_b32_e32 v3, 16, v39
	v_pack_b32_f16 v1, v6, v2
	v_fmamk_f16 v2, v7, 0x3aee, v25
	v_fmac_f16_e32 v25, 0xbaee, v7
	s_delay_alu instid0(VALU_DEP_2)
	v_pack_b32_f16 v2, v2, v4
	v_mul_f16_e64 v4, v39, v237
	ds_store_2addr_b32 v0, v1, v2 offset1:3
	v_lshrrev_b32_e32 v1, 16, v37
	v_mul_f16_e64 v2, v37, v218
	v_pack_b32_f16 v0, v25, v5
	v_lshrrev_b32_e32 v5, 16, v35
	v_fmac_f16_e32 v4, v3, v72
	v_mul_f16_e64 v3, v3, v237
	v_fmac_f16_e32 v2, v1, v71
	v_mul_f16_e64 v1, v1, v218
	ds_store_b32 v8, v0 offset:24
	v_mad_u16 v0, v48, 9, v49
	v_fma_f16 v3, v39, v72, -v3
	v_add_f16_e32 v6, v5, v2
	v_fma_f16 v1, v37, v71, -v1
	v_add_f16_e32 v7, v2, v4
	v_sub_f16_e32 v2, v2, v4
	v_and_b32_e32 v0, 0xffff, v0
	v_add_f16_e32 v4, v6, v4
	v_add_f16_e32 v6, v35, v1
	v_fmac_f16_e32 v5, -0.5, v7
	v_add_f16_e32 v7, v1, v3
	v_sub_f16_e32 v1, v1, v3
	v_lshlrev_b32_e32 v0, 2, v0
	v_add_f16_e32 v6, v6, v3
	s_delay_alu instid0(VALU_DEP_2) | instskip(NEXT) | instid1(VALU_DEP_2)
	v_mov_b32_e32 v12, v0
	v_pack_b32_f16 v3, v6, v4
	v_fma_f16 v4, -0.5, v7, v35
	v_fmamk_f16 v7, v1, 0xbaee, v5
	v_fmac_f16_e32 v5, 0x3aee, v1
	scratch_store_b32 off, v12, off offset:324 ; 4-byte Folded Spill
	v_fmamk_f16 v6, v2, 0x3aee, v4
	v_fmac_f16_e32 v4, 0xbaee, v2
	s_delay_alu instid0(VALU_DEP_2) | instskip(SKIP_1) | instid1(VALU_DEP_3)
	v_pack_b32_f16 v6, v6, v7
	v_lshrrev_b32_e32 v7, 16, v40
	v_pack_b32_f16 v2, v4, v5
	v_mad_u16 v5, v57, 9, v58
	ds_store_2addr_b32 v0, v3, v6 offset1:3
	v_lshrrev_b32_e32 v0, 16, v38
	v_mul_f16_e64 v8, v7, v178
	v_mul_f16_e64 v6, v38, v235
	v_fmac_f16_e32 v9, v7, v68
	v_lshrrev_b32_e32 v7, 16, v36
	v_mul_f16_e64 v3, v0, v235
	v_fma_f16 v8, v40, v68, -v8
	v_fmac_f16_e32 v6, v0, v67
	ds_store_b32 v12, v2 offset:24
	v_fma_f16 v3, v38, v67, -v3
	s_delay_alu instid0(VALU_DEP_1) | instskip(SKIP_1) | instid1(VALU_DEP_2)
	v_add_f16_e32 v0, v3, v8
	v_add_f16_e32 v10, v36, v3
	v_fmac_f16_e32 v36, -0.5, v0
	v_sub_f16_e32 v0, v6, v9
	s_delay_alu instid0(VALU_DEP_3) | instskip(NEXT) | instid1(VALU_DEP_2)
	v_add_f16_e32 v1, v10, v8
	v_fmamk_f16 v11, v0, 0x3aee, v36
	v_fmac_f16_e32 v36, 0xbaee, v0
	v_add_f16_e32 v0, v6, v9
	v_add_f16_e32 v6, v7, v6
	s_delay_alu instid0(VALU_DEP_2) | instskip(SKIP_1) | instid1(VALU_DEP_3)
	v_fmac_f16_e32 v7, -0.5, v0
	v_sub_f16_e32 v0, v3, v8
	v_add_f16_e32 v4, v6, v9
	s_delay_alu instid0(VALU_DEP_2) | instskip(SKIP_1) | instid1(VALU_DEP_3)
	v_fmamk_f16 v3, v0, 0xbaee, v7
	v_fmac_f16_e32 v7, 0x3aee, v0
	v_pack_b32_f16 v1, v1, v4
	s_delay_alu instid0(VALU_DEP_3) | instskip(SKIP_1) | instid1(VALU_DEP_4)
	v_pack_b32_f16 v2, v11, v3
	v_and_b32_e32 v3, 0xffff, v5
	v_pack_b32_f16 v0, v36, v7
	s_delay_alu instid0(VALU_DEP_2)
	v_lshlrev_b32_e32 v3, 2, v3
	scratch_store_b32 off, v3, off offset:320 ; 4-byte Folded Spill
	ds_store_2addr_b32 v3, v1, v2 offset1:3
	ds_store_b32 v3, v0 offset:24
	v_mul_u32_u24_e32 v0, 0xe38f, v32
	global_wb scope:SCOPE_SE
	s_wait_storecnt_dscnt 0x0
	s_barrier_signal -1
	s_barrier_wait -1
	global_inv scope:SCOPE_SE
	v_lshrrev_b32_e32 v19, 19, v0
	s_delay_alu instid0(VALU_DEP_1) | instskip(NEXT) | instid1(VALU_DEP_1)
	v_mul_lo_u16 v0, v19, 9
	v_sub_nc_u16 v22, v29, v0
	s_delay_alu instid0(VALU_DEP_1) | instskip(NEXT) | instid1(VALU_DEP_1)
	v_mul_lo_u16 v0, v22, 36
	v_and_b32_e32 v0, 0xffff, v0
	s_delay_alu instid0(VALU_DEP_1)
	v_add_co_u32 v0, s2, s6, v0
	s_wait_alu 0xf1ff
	v_add_co_ci_u32_e64 v1, null, s7, 0, s2
	s_clause 0x2
	global_load_b32 v167, v[0:1], off offset:56
	global_load_b128 v[225:228], v[0:1], off offset:24
	global_load_b128 v[198:201], v[0:1], off offset:40
	ds_load_2addr_b32 v[10:11], v89 offset0:96 offset1:204
	ds_load_2addr_b32 v[12:13], v112 offset0:104 offset1:212
	;; [unrolled: 1-line block ×10, first 2 shown]
	s_wait_dscnt 0x9
	v_lshrrev_b32_e32 v0, 16, v10
	s_wait_dscnt 0x5
	v_lshrrev_b32_e32 v45, 16, v36
	;; [unrolled: 2-line block ×4, first 2 shown]
	s_wait_loadcnt 0x2
	v_lshrrev_b32_e32 v5, 16, v167
	s_wait_loadcnt 0x1
	v_lshrrev_b32_e32 v1, 16, v226
	v_lshrrev_b32_e32 v2, 16, v228
	s_wait_loadcnt 0x0
	v_lshrrev_b32_e32 v3, 16, v199
	v_lshrrev_b32_e32 v4, 16, v201
	;; [unrolled: 1-line block ×3, first 2 shown]
	v_mul_f16_e32 v23, v10, v1
	v_mul_f16_e32 v33, v12, v2
	v_mul_f16_e32 v34, v14, v3
	v_mul_f16_e32 v35, v8, v4
	v_lshrrev_b32_e32 v253, 16, v200
	v_fmac_f16_e64 v23, v0, v226
	v_mul_f16_e32 v0, v0, v1
	v_lshrrev_b32_e32 v1, 16, v12
	v_lshrrev_b32_e32 v152, 16, v225
	;; [unrolled: 1-line block ×3, first 2 shown]
	v_mul_f16_e64 v56, v88, v254
	v_fma_f16 v10, v10, v226, -v0
	v_fmac_f16_e64 v33, v1, v228
	v_mul_f16_e32 v1, v1, v2
	v_lshrrev_b32_e32 v2, 16, v14
	v_mul_f16_e64 v57, v119, v253
	v_add_f16_e32 v54, v36, v10
	v_mul_f16_e64 v46, v39, v152
	v_fma_f16 v12, v12, v228, -v1
	v_fmac_f16_e64 v34, v2, v199
	v_mul_f16_e32 v2, v2, v3
	v_lshrrev_b32_e32 v3, 16, v8
	v_mul_f16_e64 v55, v86, v158
	s_wait_dscnt 0x0
	v_mul_f16_e32 v58, v121, v5
	v_fma_f16 v14, v14, v199, -v2
	v_fmac_f16_e64 v35, v3, v201
	v_mul_f16_e32 v3, v3, v4
	v_lshrrev_b32_e32 v2, 16, v88
	v_lshrrev_b32_e32 v4, 16, v121
	v_add_f16_e32 v0, v12, v14
	v_sub_f16_e32 v92, v23, v35
	v_fma_f16 v8, v8, v201, -v3
	v_lshrrev_b32_e32 v3, 16, v119
	v_fmac_f16_e64 v56, v2, v198
	v_fma_f16 v44, -0.5, v0, v36
	v_mul_f16_e64 v2, v2, v254
	v_add_f16_e32 v0, v10, v8
	v_sub_f16_e32 v1, v14, v8
	v_fmac_f16_e64 v57, v3, v200
	v_mul_f16_e64 v3, v3, v253
	v_fmac_f16_e64 v58, v4, v167
	v_fmac_f16_e32 v36, -0.5, v0
	v_sub_f16_e32 v0, v12, v10
	v_mul_f16_e32 v4, v4, v5
	v_fma_f16 v60, v88, v198, -v2
	v_fma_f16 v59, v119, v200, -v3
	v_sub_f16_e32 v90, v56, v57
	v_add_f16_e32 v47, v0, v1
	v_lshrrev_b32_e32 v0, 16, v39
	v_lshrrev_b32_e32 v1, 16, v86
	v_fma_f16 v61, v121, v167, -v4
	v_sub_f16_e32 v91, v60, v59
	v_sub_f16_e32 v88, v33, v34
	v_fmac_f16_e64 v46, v0, v225
	v_mul_f16_e64 v0, v0, v152
	v_fmac_f16_e64 v55, v1, v227
	v_mul_f16_e64 v1, v1, v158
	v_lshrrev_b32_e32 v5, 16, v11
	v_lshrrev_b32_e32 v3, 16, v37
	v_fma_f16 v52, v39, v225, -v0
	v_add_f16_e32 v0, v60, v59
	v_fma_f16 v62, v86, v227, -v1
	v_sub_f16_e32 v1, v59, v61
	v_add_f16_e32 v109, v46, v55
	v_sub_f16_e32 v94, v55, v58
	v_fma_f16 v53, -0.5, v0, v52
	v_add_f16_e32 v0, v62, v61
	v_add_f16_e32 v106, v52, v62
	v_sub_f16_e32 v102, v62, v61
	v_lshrrev_b32_e32 v86, 16, v38
	s_delay_alu instid0(VALU_DEP_4) | instskip(SKIP_1) | instid1(VALU_DEP_2)
	v_fmac_f16_e32 v52, -0.5, v0
	v_sub_f16_e32 v0, v60, v62
	v_fmamk_f16 v104, v90, 0xbb9c, v52
	s_delay_alu instid0(VALU_DEP_2) | instskip(SKIP_4) | instid1(VALU_DEP_4)
	v_add_f16_e32 v64, v0, v1
	v_add_f16_e32 v0, v56, v57
	v_sub_f16_e32 v1, v57, v58
	v_fmac_f16_e32 v52, 0x3b9c, v90
	v_fmac_f16_e32 v104, 0x38b4, v94
	v_fma_f16 v63, -0.5, v0, v46
	v_add_f16_e32 v0, v55, v58
	s_delay_alu instid0(VALU_DEP_4) | instskip(NEXT) | instid1(VALU_DEP_4)
	v_fmac_f16_e32 v52, 0xb8b4, v94
	v_fmac_f16_e32 v104, 0x34f2, v64
	s_delay_alu instid0(VALU_DEP_3) | instskip(SKIP_1) | instid1(VALU_DEP_4)
	v_fmac_f16_e32 v46, -0.5, v0
	v_sub_f16_e32 v0, v56, v55
	v_fmac_f16_e32 v52, 0x34f2, v64
	s_delay_alu instid0(VALU_DEP_3) | instskip(NEXT) | instid1(VALU_DEP_3)
	v_fmamk_f16 v105, v91, 0x3b9c, v46
	v_add_f16_e32 v96, v0, v1
	v_mul_lo_u16 v0, v18, 57
	v_fmac_f16_e32 v46, 0xbb9c, v91
	v_fmamk_f16 v18, v88, 0xbb9c, v36
	v_fmac_f16_e32 v36, 0x3b9c, v88
	v_mul_f16_e32 v2, 0xb4f2, v52
	v_lshrrev_b16 v0, 9, v0
	v_fmac_f16_e32 v46, 0x38b4, v102
	v_fmac_f16_e32 v105, 0xb8b4, v102
	;; [unrolled: 1-line block ×4, first 2 shown]
	v_mul_lo_u16 v1, v0, 9
	v_fmac_f16_e32 v46, 0x34f2, v96
	v_and_b32_e32 v0, 0xffff, v0
	v_fmac_f16_e32 v36, 0x34f2, v47
	v_fmac_f16_e32 v105, 0x34f2, v96
	v_sub_nc_u16 v1, v28, v1
	v_fmac_f16_e32 v2, 0x3b9c, v46
	v_mul_u32_u24_e32 v0, 0x5a, v0
	v_fmac_f16_e32 v18, 0x34f2, v47
	s_delay_alu instid0(VALU_DEP_4) | instskip(NEXT) | instid1(VALU_DEP_4)
	v_and_b32_e32 v1, 0xff, v1
	v_add_f16_e32 v116, v36, v2
	v_sub_f16_e32 v115, v36, v2
	s_delay_alu instid0(VALU_DEP_3)
	v_mad_co_u64_u32 v[48:49], null, v1, 36, s[6:7]
	s_clause 0x2
	global_load_b128 v[40:43], v[48:49], off offset:24
	global_load_b128 v[231:234], v[48:49], off offset:40
	global_load_b32 v154, v[48:49], off offset:56
	s_wait_loadcnt 0x2
	v_lshrrev_b32_e32 v98, 16, v40
	v_lshrrev_b32_e32 v103, 16, v42
	s_wait_loadcnt 0x1
	v_lshrrev_b32_e32 v243, 16, v231
	v_lshrrev_b32_e32 v242, 16, v233
	s_wait_loadcnt 0x0
	v_lshrrev_b32_e32 v161, 16, v154
	v_mul_f16_e32 v2, v37, v98
	v_mul_f16_e32 v6, v5, v103
	;; [unrolled: 1-line block ×4, first 2 shown]
	v_lshrrev_b32_e32 v97, 16, v41
	v_fmac_f16_e32 v2, v3, v40
	v_fma_f16 v6, v11, v42, -v6
	v_lshrrev_b32_e32 v11, 16, v13
	v_mul_lo_u16 v3, v21, 57
	v_fmac_f16_e32 v7, v5, v42
	v_fma_f16 v4, v37, v40, -v4
	v_lshrrev_b32_e32 v168, 16, v43
	v_mul_f16_e64 v36, v11, v243
	v_lshrrev_b16 v3, 9, v3
	v_lshrrev_b32_e32 v130, 16, v232
	v_add_f16_e64 v250, v2, v7
	v_mul_lo_u16 v21, 0xb7, v21
	v_fma_f16 v99, v13, v231, -v36
	v_lshrrev_b32_e32 v36, 16, v15
	v_mul_lo_u16 v5, v3, 9
	v_mul_f16_e64 v13, v13, v243
	v_and_b32_e32 v3, 0xffff, v3
	s_delay_alu instid0(VALU_DEP_4) | instskip(NEXT) | instid1(VALU_DEP_4)
	v_mul_f16_e64 v37, v36, v242
	v_sub_nc_u16 v5, v20, v5
	s_delay_alu instid0(VALU_DEP_4)
	v_fmac_f16_e64 v13, v11, v231
	v_lshrrev_b32_e32 v11, 16, v9
	v_mul_u32_u24_e32 v3, 0x5a, v3
	v_fma_f16 v107, v15, v233, -v37
	v_mul_f16_e64 v15, v15, v242
	v_and_b32_e32 v5, 0xff, v5
	v_mul_f16_e64 v39, v11, v161
	v_add_f16_e64 v250, v250, v13
	v_sub_f16_e64 v239, v99, v107
	v_fmac_f16_e64 v15, v36, v233
	v_mad_co_u64_u32 v[36:37], null, v5, 36, s[6:7]
	v_fma_f16 v121, v9, v154, -v39
	v_mul_f16_e64 v9, v9, v161
	s_delay_alu instid0(VALU_DEP_4) | instskip(SKIP_1) | instid1(VALU_DEP_4)
	v_sub_f16_e64 v245, v13, v15
	v_add_f16_e64 v250, v250, v15
	v_sub_f16_e64 v221, v121, v107
	global_load_b128 v[48:51], v[36:37], off offset:24
	v_fmac_f16_e64 v9, v11, v154
	v_lshrrev_b32_e32 v11, 16, v87
	v_sub_f16_e64 v238, v6, v121
	s_delay_alu instid0(VALU_DEP_3)
	v_sub_f16_e64 v224, v9, v15
	v_sub_f16_e64 v240, v7, v9
	v_add_f16_e64 v250, v250, v9
	s_wait_loadcnt 0x0
	v_lshrrev_b32_e32 v101, 16, v48
	v_lshrrev_b32_e32 v100, 16, v49
	;; [unrolled: 1-line block ×3, first 2 shown]
	s_delay_alu instid0(VALU_DEP_3) | instskip(SKIP_1) | instid1(VALU_DEP_2)
	v_mul_f16_e32 v39, v86, v101
	v_mul_f16_e32 v126, v38, v101
	v_fma_f16 v125, v38, v48, -v39
	ds_load_2addr_b32 v[38:39], v114 offset0:136 offset1:244
	v_fmac_f16_e32 v126, v86, v48
	s_wait_dscnt 0x0
	v_lshrrev_b32_e32 v95, 16, v38
	v_mul_f16_e32 v127, v38, v97
	v_lshrrev_b32_e32 v119, 16, v39
	v_mul_f16_e64 v133, v39, v100
	s_delay_alu instid0(VALU_DEP_3) | instskip(SKIP_1) | instid1(VALU_DEP_3)
	v_fmac_f16_e32 v127, v95, v41
	v_mul_f16_e32 v95, v95, v97
	v_fmac_f16_e64 v133, v119, v49
	s_delay_alu instid0(VALU_DEP_2) | instskip(SKIP_2) | instid1(VALU_DEP_2)
	v_fma_f16 v128, v38, v41, -v95
	v_mul_f16_e32 v38, v119, v100
	v_lshrrev_b32_e32 v95, 16, v50
	v_fma_f16 v129, v39, v49, -v38
	s_delay_alu instid0(VALU_DEP_2) | instskip(SKIP_1) | instid1(VALU_DEP_2)
	v_mul_f16_e64 v38, v134, v95
	v_mul_f16_e64 v138, v85, v95
	v_fma_f16 v135, v85, v50, -v38
	ds_load_2addr_b32 v[38:39], v111 offset0:16 offset1:124
	v_fmac_f16_e64 v138, v134, v50
	v_add_f16_e64 v182, v125, v135
	s_delay_alu instid0(VALU_DEP_2) | instskip(SKIP_4) | instid1(VALU_DEP_2)
	v_add_f16_e64 v186, v126, v138
	s_wait_dscnt 0x0
	v_lshrrev_b32_e32 v85, 16, v38
	v_mul_f16_e64 v139, v38, v168
	v_mul_f16_e64 v156, v39, v117
	v_fmac_f16_e64 v139, v85, v43
	v_mul_f16_e64 v85, v85, v168
	s_delay_alu instid0(VALU_DEP_1) | instskip(SKIP_1) | instid1(VALU_DEP_2)
	v_fma_f16 v140, v38, v43, -v85
	v_lshrrev_b32_e32 v38, 16, v39
	v_sub_f16_e64 v213, v128, v140
	s_delay_alu instid0(VALU_DEP_2) | instskip(SKIP_1) | instid1(VALU_DEP_2)
	v_mul_f16_e32 v85, v38, v117
	v_fmac_f16_e64 v156, v38, v51
	v_fma_f16 v155, v39, v51, -v85
	s_clause 0x1
	global_load_b32 v203, v[36:37], off offset:56
	global_load_b128 v[36:39], v[36:37], off offset:40
	s_wait_loadcnt 0x1
	v_lshrrev_b32_e32 v24, 16, v203
	s_wait_loadcnt 0x0
	v_lshrrev_b32_e32 v246, 16, v36
	v_lshrrev_b32_e32 v251, 16, v37
	;; [unrolled: 1-line block ×4, first 2 shown]
	s_delay_alu instid0(VALU_DEP_4) | instskip(SKIP_1) | instid1(VALU_DEP_4)
	v_mul_f16_e64 v85, v11, v246
	v_mul_f16_e64 v157, v87, v246
	;; [unrolled: 1-line block ×3, first 2 shown]
	s_delay_alu instid0(VALU_DEP_3) | instskip(SKIP_3) | instid1(VALU_DEP_1)
	v_fma_f16 v134, v87, v36, -v85
	ds_load_2addr_b32 v[86:87], v136 offset0:24 offset1:132
	v_fmac_f16_e64 v157, v11, v36
	v_fmac_f16_e64 v171, v169, v38
	v_sub_f16_e64 v189, v157, v171
	s_wait_dscnt 0x0
	v_lshrrev_b32_e32 v119, 16, v86
	v_mul_f16_e64 v162, v86, v130
	v_lshrrev_b32_e32 v164, 16, v87
	v_mul_f16_e64 v166, v87, v251
	s_delay_alu instid0(VALU_DEP_3) | instskip(SKIP_1) | instid1(VALU_DEP_3)
	v_fmac_f16_e64 v162, v119, v232
	v_mul_f16_e64 v119, v119, v130
	v_fmac_f16_e64 v166, v164, v37
	s_delay_alu instid0(VALU_DEP_3) | instskip(NEXT) | instid1(VALU_DEP_3)
	v_add_f16_e64 v248, v139, v162
	v_fma_f16 v163, v86, v232, -v119
	v_mul_f16_e64 v86, v164, v251
	v_sub_f16_e64 v206, v139, v162
	s_delay_alu instid0(VALU_DEP_3) | instskip(NEXT) | instid1(VALU_DEP_3)
	v_add_f16_e64 v204, v140, v163
	v_fma_f16 v165, v87, v37, -v86
	v_mul_f16_e64 v86, v169, v247
	v_lshrrev_b32_e32 v87, 16, v234
	v_sub_f16_e64 v209, v140, v163
	s_delay_alu instid0(VALU_DEP_4) | instskip(NEXT) | instid1(VALU_DEP_4)
	v_add_f16_e64 v11, v155, v165
	v_fma_f16 v170, v118, v38, -v86
	ds_load_2addr_b32 v[118:119], v190 offset0:32 offset1:140
	v_sub_f16_e64 v194, v134, v170
	s_wait_dscnt 0x0
	v_lshrrev_b32_e32 v86, 16, v118
	v_mul_f16_e64 v172, v118, v87
	v_mul_f16_e64 v176, v119, v110
	s_delay_alu instid0(VALU_DEP_2) | instskip(SKIP_1) | instid1(VALU_DEP_2)
	v_fmac_f16_e64 v172, v86, v234
	v_mul_f16_e32 v86, v86, v87
	v_sub_f16_e64 v220, v172, v162
	s_delay_alu instid0(VALU_DEP_2) | instskip(SKIP_1) | instid1(VALU_DEP_2)
	v_fma_f16 v173, v118, v234, -v86
	v_lshrrev_b32_e32 v118, 16, v119
	v_sub_f16_e64 v219, v173, v163
	s_delay_alu instid0(VALU_DEP_2)
	v_mul_f16_e64 v175, v118, v110
	v_fmac_f16_e64 v176, v118, v39
	v_add_f16_e64 v212, v128, v173
	v_sub_f16_e64 v207, v128, v173
	v_add_f16_e64 v219, v213, v219
	v_fma_f16 v175, v119, v39, -v175
	v_lshrrev_b32_e32 v119, 16, v120
	v_sub_f16_e64 v213, v127, v139
	v_sub_f16_e64 v193, v133, v176
	s_delay_alu instid0(VALU_DEP_4) | instskip(NEXT) | instid1(VALU_DEP_4)
	v_add_f16_e64 v164, v129, v175
	v_mul_f16_e64 v177, v119, v24
	v_sub_f16_e64 v180, v165, v175
	v_add_f16_e64 v220, v213, v220
	v_sub_f16_e64 v213, v6, v99
	s_delay_alu instid0(VALU_DEP_4) | instskip(SKIP_1) | instid1(VALU_DEP_3)
	v_fma_f16 v177, v120, v203, -v177
	v_mul_f16_e32 v120, v120, v24
	v_add_f16_e64 v221, v213, v221
	v_sub_f16_e64 v213, v7, v13
	s_delay_alu instid0(VALU_DEP_4) | instskip(NEXT) | instid1(VALU_DEP_4)
	v_add_f16_e64 v181, v135, v177
	v_fmac_f16_e64 v120, v119, v203
	ds_load_2addr_b32 v[118:119], v151 offset1:108
	v_sub_f16_e64 v184, v170, v177
	v_add_f16_e64 v224, v213, v224
	v_add_f16_e64 v213, v99, v107
	;; [unrolled: 1-line block ×3, first 2 shown]
	v_sub_f16_e64 v187, v171, v120
	v_sub_f16_e64 v192, v138, v120
	v_sub_f16_e64 v196, v135, v177
	v_fma_f16 v229, -0.5, v213, v4
	v_add_f16_e64 v213, v13, v15
	global_wb scope:SCOPE_SE
	s_wait_dscnt 0x0
	s_barrier_signal -1
	s_barrier_wait -1
	v_fma_f16 v241, 0x3b9c, v240, v229
	v_fma_f16 v236, -0.5, v213, v2
	global_inv scope:SCOPE_SE
	v_fmac_f16_e64 v229, 0xbb9c, v240
	v_fmac_f16_e64 v241, 0x38b4, v245
	v_fma_f16 v213, 0xbb9c, v238, v236
	v_fma_f16 v11, -0.5, v11, v119
	v_lshrrev_b32_e32 v169, 16, v119
	v_add_f16_e64 v179, v119, v129
	v_fmac_f16_e64 v119, -0.5, v164
	v_sub_f16_e64 v164, v155, v129
	v_fmac_f16_e64 v213, 0xb8b4, v239
	v_fmac_f16_e64 v241, 0x34f2, v221
	v_fma_f16 v204, -0.5, v204, v118
	v_fma_f16 v212, -0.5, v212, v118
	v_add_f16_e64 v164, v164, v180
	v_add_f16_e64 v180, v134, v170
	v_fmac_f16_e64 v213, 0x34f2, v224
	v_fmac_f16_e64 v236, 0x3b9c, v238
	;; [unrolled: 1-line block ×3, first 2 shown]
	s_delay_alu instid0(VALU_DEP_4)
	v_fma_f16 v180, -0.5, v180, v125
	v_fmac_f16_e64 v125, -0.5, v181
	v_sub_f16_e64 v181, v134, v135
	v_mul_f16_e64 v249, 0x38b4, v213
	v_fmac_f16_e64 v236, 0x38b4, v239
	v_fmac_f16_e64 v229, 0x34f2, v221
	v_fma_f16 v191, 0xbb9c, v189, v125
	v_add_f16_e64 v181, v181, v184
	v_add_f16_e64 v184, v157, v171
	v_fmac_f16_e64 v125, 0x3b9c, v189
	v_fmac_f16_e64 v249, 0x3a79, v241
	v_mul_f16_e64 v241, 0xb8b4, v241
	v_fmac_f16_e64 v236, 0x34f2, v224
	v_fma_f16 v184, -0.5, v184, v126
	v_fmac_f16_e64 v126, -0.5, v185
	v_sub_f16_e64 v185, v157, v138
	v_fmac_f16_e64 v125, 0xb8b4, v192
	v_fmac_f16_e64 v241, 0x3a79, v213
	v_add_lshl_u32 v213, v0, v1, 2
	v_fma_f16 v195, 0x3b9c, v194, v126
	v_add_f16_e64 v185, v185, v187
	v_sub_f16_e64 v187, v156, v166
	v_fmac_f16_e64 v126, 0xbb9c, v194
	v_fmac_f16_e64 v125, 0x34f2, v181
	;; [unrolled: 1-line block ×4, first 2 shown]
	v_fma_f16 v188, 0xbb9c, v187, v119
	v_fmac_f16_e64 v119, 0x3b9c, v187
	v_fmac_f16_e64 v126, 0x38b4, v196
	v_mul_f16_e64 v211, 0xb4f2, v125
	v_fmac_f16_e64 v195, 0x34f2, v185
	v_fmac_f16_e64 v191, 0x34f2, v181
	;; [unrolled: 1-line block ×5, first 2 shown]
	s_delay_alu instid0(VALU_DEP_3) | instskip(NEXT) | instid1(VALU_DEP_3)
	v_fmac_f16_e64 v119, 0x34f2, v164
	v_fmac_f16_e64 v211, 0x3b9c, v126
	s_delay_alu instid0(VALU_DEP_3) | instskip(SKIP_1) | instid1(VALU_DEP_3)
	v_fmac_f16_e64 v188, 0x34f2, v164
	v_mul_f16_e32 v126, 0xb4f2, v126
	v_add_f16_e64 v216, v119, v211
	v_sub_f16_e64 v119, v119, v211
	v_lshrrev_b32_e32 v211, 16, v118
	v_add_f16_e64 v118, v118, v128
	v_sub_f16_e64 v128, v140, v128
	v_fmac_f16_e32 v126, 0xbb9c, v125
	s_delay_alu instid0(VALU_DEP_4) | instskip(NEXT) | instid1(VALU_DEP_4)
	v_add_f16_e64 v1, v211, v127
	v_add_f16_e64 v0, v118, v140
	v_add_f16_e32 v118, v4, v6
	v_fma_f16 v248, -0.5, v248, v211
	v_sub_f16_e64 v140, v163, v173
	v_add_f16_e64 v1, v1, v139
	v_add_f16_e64 v0, v0, v163
	v_add_f16_e32 v118, v118, v99
	v_sub_f16_e32 v99, v99, v6
	v_add_f16_e32 v6, v6, v121
	v_add_f16_e64 v1, v1, v162
	v_add_f16_e64 v0, v0, v173
	v_add_f16_e32 v118, v118, v107
	v_fma_f16 v208, 0xbb9c, v207, v248
	v_sub_f16_e32 v107, v107, v121
	v_add_f16_e64 v1, v1, v172
	v_fmac_f16_e32 v4, -0.5, v6
	v_add_f16_e32 v118, v118, v121
	v_fmac_f16_e64 v208, 0xb8b4, v209
	v_add_f16_e32 v6, v99, v107
	v_add_f16_e64 v252, v1, v250
	v_add_f16_e32 v99, v7, v9
	v_add_f16_e64 v255, v0, v118
	v_sub_f16_e32 v7, v13, v7
	v_fma_f16 v13, 0xbb9c, v245, v4
	v_fmac_f16_e64 v4, 0x3b9c, v245
	v_fmac_f16_e64 v208, 0x34f2, v220
	v_pack_b32_f16 v252, v255, v252
	v_sub_f16_e64 v255, v127, v172
	v_fmac_f16_e32 v2, -0.5, v99
	v_sub_f16_e32 v9, v15, v9
	v_fmac_f16_e64 v13, 0x38b4, v240
	v_fmac_f16_e64 v4, 0xb8b4, v240
	v_fma_f16 v205, 0x3b9c, v255, v204
	v_add_f16_e64 v244, v208, v241
	v_sub_f16_e64 v139, v139, v127
	v_add_f16_e64 v127, v127, v172
	v_fmac_f16_e32 v13, 0x34f2, v6
	v_fmac_f16_e64 v205, 0x38b4, v206
	v_fmac_f16_e32 v4, 0x34f2, v6
	v_add_f16_e32 v6, v7, v9
	v_fma_f16 v7, 0x3b9c, v239, v2
	v_fmac_f16_e64 v211, -0.5, v127
	v_fmac_f16_e64 v205, 0x34f2, v219
	v_fmac_f16_e64 v2, 0xbb9c, v239
	v_add_f16_e64 v128, v128, v140
	v_fmac_f16_e64 v7, 0xb8b4, v238
	v_sub_f16_e64 v140, v162, v172
	v_add_f16_e64 v145, v205, v249
	v_fma_f16 v121, 0x3b9c, v209, v211
	v_fmac_f16_e64 v2, 0x38b4, v238
	v_fmac_f16_e32 v7, 0x34f2, v6
	v_mul_f16_e32 v9, 0xbb9c, v13
	v_pack_b32_f16 v145, v145, v244
	v_add_f16_e64 v127, v139, v140
	v_fmac_f16_e64 v211, 0xbb9c, v209
	v_fmac_f16_e64 v121, 0xb8b4, v207
	v_fmac_f16_e32 v2, 0x34f2, v6
	ds_store_2addr_b32 v213, v252, v145 offset1:9
	v_fma_f16 v145, 0xbb9c, v206, v212
	v_fmac_f16_e64 v212, 0x3b9c, v206
	v_mul_f16_e32 v6, 0x3b9c, v7
	v_fmac_f16_e32 v9, 0x34f2, v7
	v_mul_f16_e32 v7, 0xb4f2, v4
	v_fmac_f16_e64 v145, 0x38b4, v255
	v_fmac_f16_e64 v212, 0xb8b4, v255
	;; [unrolled: 1-line block ×3, first 2 shown]
	v_fmac_f16_e32 v121, 0x34f2, v127
	v_fmac_f16_e32 v6, 0x34f2, v13
	v_fmac_f16_e64 v145, 0x34f2, v128
	v_fmac_f16_e32 v7, 0x3b9c, v2
	v_mul_f16_e32 v2, 0xb4f2, v2
	v_fmac_f16_e64 v212, 0x34f2, v128
	v_fmac_f16_e64 v211, 0x34f2, v127
	v_add_f16_e32 v13, v121, v9
	v_fmac_f16_e64 v204, 0xbb9c, v255
	v_fmac_f16_e32 v2, 0xbb9c, v4
	v_add_f16_e64 v4, v145, v6
	v_fmac_f16_e64 v248, 0x3b9c, v207
	v_sub_f16_e32 v0, v0, v118
	v_fmac_f16_e64 v204, 0xb8b4, v206
	v_add_f16_e64 v15, v211, v2
	v_pack_b32_f16 v4, v4, v13
	v_add_f16_e64 v13, v212, v7
	v_fmac_f16_e64 v248, 0x38b4, v209
	v_fmac_f16_e64 v204, 0x34f2, v219
	v_sub_f16_e64 v1, v1, v250
	v_sub_f16_e32 v9, v121, v9
	v_pack_b32_f16 v13, v13, v15
	v_fmac_f16_e64 v248, 0x34f2, v220
	v_sub_f16_e64 v2, v211, v2
	v_pack_b32_f16 v0, v0, v1
	v_sub_f16_e64 v1, v145, v6
	ds_store_2addr_b32 v213, v4, v13 offset0:18 offset1:27
	v_mul_f16_e64 v4, 0xba79, v229
	v_mul_f16_e64 v13, 0xba79, v236
	v_sub_f16_e64 v6, v208, v241
	v_pack_b32_f16 v1, v1, v9
	v_sub_f16_e64 v9, v135, v134
	v_fmac_f16_e64 v4, 0x38b4, v236
	v_fmac_f16_e64 v13, 0xb8b4, v229
	v_fma_f16 v107, 0x3b9c, v192, v180
	v_fmac_f16_e64 v180, 0xbb9c, v192
	s_delay_alu instid0(VALU_DEP_4) | instskip(NEXT) | instid1(VALU_DEP_4)
	v_add_f16_e64 v15, v204, v4
	v_add_f16_e64 v99, v248, v13
	s_delay_alu instid0(VALU_DEP_4) | instskip(NEXT) | instid1(VALU_DEP_4)
	v_fmac_f16_e64 v107, 0x38b4, v189
	v_fmac_f16_e64 v180, 0xb8b4, v189
	s_delay_alu instid0(VALU_DEP_3) | instskip(SKIP_4) | instid1(VALU_DEP_2)
	v_pack_b32_f16 v15, v15, v99
	v_sub_f16_e64 v99, v120, v171
	ds_store_2addr_b32 v213, v15, v0 offset0:36 offset1:45
	v_sub_f16_e64 v0, v205, v249
	v_sub_f16_e64 v15, v138, v157
	v_pack_b32_f16 v0, v0, v6
	s_delay_alu instid0(VALU_DEP_2)
	v_add_f16_e32 v15, v15, v99
	v_fma_f16 v99, 0xbb9c, v196, v184
	v_sub_f16_e64 v6, v133, v156
	v_fmac_f16_e64 v184, 0x3b9c, v196
	ds_store_2addr_b32 v213, v0, v1 offset0:54 offset1:63
	v_sub_f16_e64 v0, v212, v7
	v_sub_f16_e64 v1, v204, v4
	;; [unrolled: 1-line block ×5, first 2 shown]
	v_pack_b32_f16 v0, v0, v2
	v_fmac_f16_e64 v99, 0xb8b4, v194
	v_pack_b32_f16 v1, v1, v4
	v_add_lshl_u32 v212, v3, v5, 2
	v_add_f16_e64 v3, v169, v133
	v_add_f16_e32 v6, v6, v7
	v_add_f16_e64 v7, v182, v134
	ds_store_2addr_b32 v213, v0, v1 offset0:72 offset1:81
	v_sub_f16_e64 v0, v129, v155
	v_sub_f16_e64 v1, v175, v165
	v_add_f16_e32 v9, v9, v13
	v_add_f16_e64 v13, v186, v157
	v_fmac_f16_e32 v99, 0x34f2, v15
	v_add_f16_e64 v3, v3, v156
	v_add_f16_e32 v0, v0, v1
	v_add_f16_e64 v1, v179, v155
	v_add_f16_e64 v7, v7, v170
	;; [unrolled: 1-line block ×3, first 2 shown]
	v_fmac_f16_e32 v107, 0x34f2, v9
	v_mul_f16_e32 v118, 0x38b4, v99
	v_add_f16_e64 v1, v1, v165
	v_add_f16_e64 v3, v3, v166
	;; [unrolled: 1-line block ×3, first 2 shown]
	v_add_f16_e32 v13, v13, v120
	v_fmac_f16_e32 v118, 0x3a79, v107
	v_add_f16_e64 v1, v1, v175
	v_mul_f16_e32 v107, 0xb8b4, v107
	v_add_f16_e64 v3, v3, v176
	v_sub_f16_e64 v2, v129, v175
	v_sub_f16_e64 v4, v155, v165
	v_add_f16_e32 v5, v1, v7
	v_fmac_f16_e32 v107, 0x3a79, v99
	v_add_f16_e32 v99, v3, v13
	v_fma_f16 v120, 0x3b9c, v193, v11
	v_fmac_f16_e64 v11, 0xbb9c, v193
	v_fmac_f16_e64 v184, 0x38b4, v194
	;; [unrolled: 1-line block ×3, first 2 shown]
	v_pack_b32_f16 v5, v5, v99
	v_add_f16_e64 v99, v156, v166
	v_fmac_f16_e64 v120, 0x38b4, v187
	v_fmac_f16_e64 v11, 0xb8b4, v187
	;; [unrolled: 1-line block ×3, first 2 shown]
	v_sub_f16_e32 v1, v1, v7
	v_fma_f16 v99, -0.5, v99, v169
	v_fmac_f16_e32 v120, 0x34f2, v0
	v_fmac_f16_e32 v11, 0x34f2, v0
	v_mul_f16_e64 v0, 0xba79, v180
	v_sub_f16_e32 v3, v3, v13
	v_fmamk_f16 v121, v2, 0xbb9c, v99
	v_add_f16_e32 v127, v120, v118
	v_fmac_f16_e32 v99, 0x3b9c, v2
	v_fmac_f16_e64 v0, 0x38b4, v184
	v_pack_b32_f16 v1, v1, v3
	v_fmac_f16_e32 v121, 0xb8b4, v4
	v_sub_f16_e32 v7, v61, v59
	v_fmac_f16_e32 v99, 0x38b4, v4
	v_sub_f16_e32 v9, v58, v57
	v_fmamk_f16 v15, v92, 0x3b9c, v44
	v_fmac_f16_e32 v121, 0x34f2, v6
	v_fmac_f16_e32 v44, 0xbb9c, v92
	;; [unrolled: 1-line block ×3, first 2 shown]
	v_lshrrev_b16 v92, 14, v21
	v_fmac_f16_e32 v15, 0x38b4, v88
	v_add_f16_e64 v128, v121, v107
	v_fmac_f16_e32 v44, 0xb8b4, v88
	s_delay_alu instid0(VALU_DEP_4) | instskip(SKIP_1) | instid1(VALU_DEP_4)
	v_mul_lo_u16 v21, 0x5a, v92
	v_and_b32_e32 v92, 0xffff, v92
	v_pack_b32_f16 v127, v127, v128
	v_mul_f16_e64 v128, 0xbb9c, v191
	s_delay_alu instid0(VALU_DEP_4) | instskip(NEXT) | instid1(VALU_DEP_4)
	v_sub_nc_u16 v20, v20, v21
	v_mul_u32_u24_e32 v92, 0x21c, v92
	ds_store_2addr_b32 v212, v5, v127 offset1:9
	v_add_f16_e64 v5, v133, v176
	v_sub_f16_e64 v127, v166, v176
	v_fmac_f16_e64 v128, 0x34f2, v195
	v_and_b32_e32 v96, 0xff, v20
	s_delay_alu instid0(VALU_DEP_4) | instskip(SKIP_1) | instid1(VALU_DEP_3)
	v_fmac_f16_e64 v169, -0.5, v5
	v_sub_f16_e64 v5, v156, v133
	v_add_lshl_u32 v202, v92, v96, 2
	s_delay_alu instid0(VALU_DEP_2) | instskip(NEXT) | instid1(VALU_DEP_4)
	v_add_f16_e32 v5, v5, v127
	v_fma_f16 v127, 0x3b9c, v4, v169
	v_fmac_f16_e64 v169, 0xbb9c, v4
	v_add_f16_e32 v4, v11, v0
	v_sub_f16_e32 v0, v11, v0
	s_delay_alu instid0(VALU_DEP_4) | instskip(NEXT) | instid1(VALU_DEP_4)
	v_fmac_f16_e32 v127, 0xb8b4, v2
	v_fmac_f16_e64 v169, 0x38b4, v2
	v_mul_f16_e64 v2, 0xba79, v184
	s_delay_alu instid0(VALU_DEP_3) | instskip(NEXT) | instid1(VALU_DEP_3)
	v_fmac_f16_e32 v127, 0x34f2, v5
	v_fmac_f16_e64 v169, 0x34f2, v5
	s_delay_alu instid0(VALU_DEP_3) | instskip(SKIP_1) | instid1(VALU_DEP_4)
	v_fmac_f16_e64 v2, 0xb8b4, v180
	v_mul_f16_e64 v5, 0x3b9c, v195
	v_add_f16_e64 v129, v127, v128
	s_delay_alu instid0(VALU_DEP_3) | instskip(NEXT) | instid1(VALU_DEP_3)
	v_add_f16_e32 v6, v99, v2
	v_fmac_f16_e64 v5, 0x34f2, v191
	v_sub_f16_e32 v2, v99, v2
	s_delay_alu instid0(VALU_DEP_3) | instskip(NEXT) | instid1(VALU_DEP_3)
	v_pack_b32_f16 v4, v4, v6
	v_add_f16_e64 v125, v188, v5
	v_sub_f16_e64 v3, v188, v5
	v_sub_f16_e64 v5, v127, v128
	v_pack_b32_f16 v0, v0, v2
	ds_store_2addr_b32 v212, v4, v1 offset0:36 offset1:45
	v_sub_f16_e32 v1, v120, v118
	v_sub_f16_e32 v4, v121, v107
	v_pack_b32_f16 v3, v3, v5
	v_sub_f16_e32 v5, v35, v34
	v_sub_f16_e32 v6, v62, v60
	;; [unrolled: 1-line block ×3, first 2 shown]
	v_pack_b32_f16 v1, v1, v4
	v_sub_f16_e32 v4, v23, v33
	v_pack_b32_f16 v125, v125, v129
	v_add_f16_e32 v6, v6, v7
	v_add_f16_e32 v7, v109, v56
	ds_store_2addr_b32 v212, v1, v3 offset0:54 offset1:63
	v_sub_f16_e64 v1, v169, v126
	v_sub_f16_e32 v3, v12, v14
	v_add_f16_e32 v4, v4, v5
	v_add_f16_e32 v5, v106, v60
	;; [unrolled: 1-line block ×3, first 2 shown]
	v_pack_b32_f16 v1, v119, v1
	v_add_f16_e64 v129, v169, v126
	s_delay_alu instid0(VALU_DEP_4) | instskip(NEXT) | instid1(VALU_DEP_4)
	v_add_f16_e32 v5, v5, v59
	v_add_f16_e32 v7, v7, v58
	ds_store_2addr_b32 v212, v1, v0 offset0:72 offset1:81
	v_sub_f16_e32 v0, v10, v12
	v_sub_f16_e32 v1, v8, v14
	v_add_f16_e32 v5, v5, v61
	v_fmamk_f16 v10, v94, 0x3b9c, v53
	v_pack_b32_f16 v129, v216, v129
	v_fmac_f16_e32 v53, 0xbb9c, v94
	v_add_f16_e32 v0, v0, v1
	v_add_f16_e32 v1, v54, v12
	;; [unrolled: 1-line block ×3, first 2 shown]
	v_fmac_f16_e32 v10, 0x38b4, v90
	ds_store_2addr_b32 v212, v125, v129 offset0:18 offset1:27
	v_fmac_f16_e32 v15, 0x34f2, v0
	v_add_f16_e32 v1, v1, v14
	v_add_f16_e32 v12, v12, v33
	v_fmac_f16_e32 v10, 0x34f2, v6
	v_fmac_f16_e32 v53, 0xb8b4, v90
	;; [unrolled: 1-line block ×3, first 2 shown]
	v_add_f16_e32 v1, v1, v8
	v_sub_f16_e32 v8, v55, v56
	v_add_f16_e32 v12, v12, v34
	v_fmac_f16_e32 v53, 0x34f2, v6
	s_delay_alu instid0(VALU_DEP_4) | instskip(NEXT) | instid1(VALU_DEP_4)
	v_add_f16_e32 v13, v1, v5
	v_add_f16_e32 v8, v8, v9
	v_fmamk_f16 v9, v102, 0xbb9c, v63
	v_add_f16_e32 v12, v12, v35
	v_fmac_f16_e32 v63, 0x3b9c, v102
	v_mul_f16_e32 v0, 0xba79, v53
	v_sub_f16_e32 v1, v1, v5
	v_fmac_f16_e32 v9, 0xb8b4, v91
	v_add_f16_e32 v14, v12, v7
	v_fmac_f16_e32 v63, 0x38b4, v91
	s_delay_alu instid0(VALU_DEP_3) | instskip(NEXT) | instid1(VALU_DEP_3)
	v_fmac_f16_e32 v9, 0x34f2, v8
	v_pack_b32_f16 v13, v13, v14
	v_add_f16_e32 v14, v33, v34
	s_delay_alu instid0(VALU_DEP_4) | instskip(NEXT) | instid1(VALU_DEP_4)
	v_fmac_f16_e32 v63, 0x34f2, v8
	v_mul_f16_e32 v11, 0x38b4, v9
	s_delay_alu instid0(VALU_DEP_3) | instskip(NEXT) | instid1(VALU_DEP_3)
	v_fma_f16 v14, -0.5, v14, v45
	v_fmac_f16_e32 v0, 0x38b4, v63
	s_delay_alu instid0(VALU_DEP_3) | instskip(SKIP_1) | instid1(VALU_DEP_1)
	v_fmac_f16_e32 v11, 0x3a79, v10
	v_mul_f16_e32 v10, 0xb8b4, v10
	v_fmac_f16_e32 v10, 0x3a79, v9
	v_mad_u16 v9, 0x5a, v19, v22
	v_fmamk_f16 v19, v2, 0xbb9c, v14
	v_add_f16_e32 v22, v15, v11
	v_fmac_f16_e32 v14, 0x3b9c, v2
	s_delay_alu instid0(VALU_DEP_4) | instskip(NEXT) | instid1(VALU_DEP_4)
	v_and_b32_e32 v9, 0xffff, v9
	v_fmac_f16_e32 v19, 0xb8b4, v3
	s_delay_alu instid0(VALU_DEP_3) | instskip(NEXT) | instid1(VALU_DEP_3)
	v_fmac_f16_e32 v14, 0x38b4, v3
	v_lshlrev_b32_e32 v211, 2, v9
	s_delay_alu instid0(VALU_DEP_3) | instskip(SKIP_1) | instid1(VALU_DEP_4)
	v_fmac_f16_e32 v19, 0x34f2, v4
	v_add_f16_e32 v9, v23, v35
	v_fmac_f16_e32 v14, 0x34f2, v4
	v_add_f16_e32 v4, v44, v0
	v_sub_f16_e32 v0, v44, v0
	v_add_f16_e32 v54, v19, v10
	v_fmac_f16_e32 v45, -0.5, v9
	v_sub_f16_e32 v9, v33, v23
	v_mul_f16_e32 v23, 0xb4f2, v46
	s_delay_alu instid0(VALU_DEP_4) | instskip(NEXT) | instid1(VALU_DEP_2)
	v_pack_b32_f16 v22, v22, v54
	v_fmac_f16_e32 v23, 0xbb9c, v52
	ds_store_2addr_b32 v211, v13, v22 offset1:9
	v_sub_f16_e32 v13, v34, v35
	v_mul_f16_e32 v22, 0xbb9c, v104
	s_delay_alu instid0(VALU_DEP_2) | instskip(SKIP_4) | instid1(VALU_DEP_4)
	v_add_f16_e32 v9, v9, v13
	v_fmamk_f16 v13, v3, 0x3b9c, v45
	v_fmac_f16_e32 v45, 0xbb9c, v3
	v_sub_f16_e32 v3, v12, v7
	v_fmac_f16_e32 v22, 0x34f2, v105
	v_fmac_f16_e32 v13, 0xb8b4, v2
	s_delay_alu instid0(VALU_DEP_4) | instskip(SKIP_2) | instid1(VALU_DEP_4)
	v_fmac_f16_e32 v45, 0x38b4, v2
	v_mul_f16_e32 v2, 0xba79, v63
	v_pack_b32_f16 v1, v1, v3
	v_fmac_f16_e32 v13, 0x34f2, v9
	s_delay_alu instid0(VALU_DEP_4) | instskip(NEXT) | instid1(VALU_DEP_4)
	v_fmac_f16_e32 v45, 0x34f2, v9
	v_fmac_f16_e32 v2, 0xb8b4, v53
	v_mul_f16_e32 v9, 0x3b9c, v105
	s_delay_alu instid0(VALU_DEP_4) | instskip(NEXT) | instid1(VALU_DEP_3)
	v_add_f16_e32 v34, v13, v22
	v_add_f16_e32 v5, v14, v2
	s_delay_alu instid0(VALU_DEP_3) | instskip(SKIP_1) | instid1(VALU_DEP_3)
	v_fmac_f16_e32 v9, 0x34f2, v104
	v_sub_f16_e32 v2, v14, v2
	v_pack_b32_f16 v4, v4, v5
	s_delay_alu instid0(VALU_DEP_3) | instskip(SKIP_1) | instid1(VALU_DEP_4)
	v_sub_f16_e32 v3, v18, v9
	v_sub_f16_e32 v5, v13, v22
	v_pack_b32_f16 v0, v0, v2
	v_add_f16_e32 v33, v18, v9
	ds_store_2addr_b32 v211, v4, v1 offset0:36 offset1:45
	v_sub_f16_e32 v1, v15, v11
	v_sub_f16_e32 v4, v19, v10
	v_pack_b32_f16 v3, v3, v5
	v_pack_b32_f16 v33, v33, v34
	v_add_f16_e32 v34, v45, v23
	s_delay_alu instid0(VALU_DEP_4) | instskip(NEXT) | instid1(VALU_DEP_2)
	v_pack_b32_f16 v1, v1, v4
	v_pack_b32_f16 v34, v116, v34
	ds_store_2addr_b32 v211, v1, v3 offset0:54 offset1:63
	v_sub_f16_e32 v1, v45, v23
	ds_store_2addr_b32 v211, v33, v34 offset0:18 offset1:27
	v_pack_b32_f16 v1, v115, v1
	ds_store_2addr_b32 v211, v1, v0 offset0:72 offset1:81
	v_mul_u32_u24_e32 v0, 0x2d83, v17
	global_wb scope:SCOPE_SE
	s_wait_dscnt 0x0
	s_barrier_signal -1
	s_barrier_wait -1
	global_inv scope:SCOPE_SE
	v_lshrrev_b32_e32 v12, 20, v0
	s_delay_alu instid0(VALU_DEP_1) | instskip(NEXT) | instid1(VALU_DEP_1)
	v_mul_lo_u16 v0, 0x5a, v12
	v_sub_nc_u16 v13, v16, v0
	v_add_nc_u32_e32 v0, 0xffffffa6, v153
	s_delay_alu instid0(VALU_DEP_1) | instskip(NEXT) | instid1(VALU_DEP_1)
	v_cndmask_b32_e32 v33, v0, v153, vcc_lo
	v_mul_i32_i24_e32 v0, 20, v33
	v_mul_hi_i32_i24_e32 v1, 20, v33
	s_delay_alu instid0(VALU_DEP_2) | instskip(SKIP_2) | instid1(VALU_DEP_3)
	v_add_co_u32 v16, vcc_lo, s6, v0
	v_mul_lo_u16 v0, v13, 20
	s_wait_alu 0xfffd
	v_add_co_ci_u32_e32 v17, vcc_lo, s7, v1, vcc_lo
	v_cmp_lt_u16_e32 vcc_lo, 0x59, v28
	s_delay_alu instid0(VALU_DEP_3) | instskip(SKIP_2) | instid1(VALU_DEP_2)
	v_and_b32_e32 v0, 0xffff, v0
	s_wait_alu 0xfffd
	v_cndmask_b32_e64 v28, 0, 0x21c, vcc_lo
	v_add_co_u32 v8, s2, s6, v0
	s_wait_alu 0xf1ff
	v_add_co_ci_u32_e64 v9, null, s7, 0, s2
	s_clause 0x1
	global_load_b32 v179, v[8:9], off offset:364
	global_load_b128 v[238:241], v[8:9], off offset:348
	ds_load_2addr_b32 v[22:23], v112 offset0:104 offset1:212
	ds_load_2addr_b32 v[34:35], v190 offset0:32 offset1:140
	;; [unrolled: 1-line block ×6, first 2 shown]
	s_clause 0x1
	global_load_b32 v155, v[16:17], off offset:364
	global_load_b128 v[162:165], v[16:17], off offset:348
	v_add_lshl_u32 v210, v33, v28, 2
	s_delay_alu instid0(VALU_DEP_1)
	v_add_nc_u32_e32 v16, 0x200, v210
	s_wait_dscnt 0x5
	v_lshrrev_b32_e32 v0, 16, v22
	s_wait_dscnt 0x4
	v_lshrrev_b32_e32 v1, 16, v34
	;; [unrolled: 2-line block ×3, first 2 shown]
	v_lshrrev_b32_e32 v7, 16, v56
	s_wait_loadcnt 0x3
	v_lshrrev_b32_e32 v4, 16, v179
	s_wait_loadcnt 0x2
	v_lshrrev_b32_e32 v221, 16, v239
	v_lshrrev_b32_e32 v2, 16, v241
	;; [unrolled: 1-line block ×4, first 2 shown]
	s_wait_dscnt 0x1
	v_mul_f16_e32 v3, v60, v4
	v_mul_f16_e64 v14, v22, v221
	v_mul_f16_e32 v44, v34, v2
	s_wait_loadcnt 0x1
	v_lshrrev_b32_e32 v150, 16, v155
	s_wait_dscnt 0x0
	v_mul_f16_e64 v53, v62, v183
	s_wait_loadcnt 0x0
	v_lshrrev_b32_e32 v132, 16, v163
	v_fmac_f16_e64 v14, v0, v239
	v_mul_f16_e64 v0, v0, v221
	v_fmac_f16_e64 v44, v1, v241
	v_mul_f16_e32 v1, v1, v2
	v_lshrrev_b32_e32 v2, 16, v60
	v_mul_f16_e64 v88, v35, v150
	v_fma_f16 v15, v22, v239, -v0
	v_lshrrev_b32_e32 v156, 16, v162
	v_fma_f16 v45, v34, v241, -v1
	v_mul_f16_e64 v1, v58, v255
	v_fmac_f16_e64 v3, v2, v179
	v_add_f16_e32 v52, v55, v15
	v_mul_f16_e32 v2, v2, v4
	v_add_f16_e32 v0, v15, v45
	v_lshrrev_b32_e32 v4, 16, v62
	v_mul_f16_e64 v8, v7, v156
	v_mul_f16_e64 v10, v56, v156
	v_fma_f16 v2, v60, v179, -v2
	v_fmac_f16_e32 v55, -0.5, v0
	v_sub_f16_e32 v0, v14, v44
	v_fmac_f16_e64 v53, v4, v238
	v_mul_f16_e64 v4, v4, v183
	v_fma_f16 v8, v56, v162, -v8
	v_lshrrev_b32_e32 v146, 16, v164
	v_fmamk_f16 v47, v0, 0x3aee, v55
	v_fmac_f16_e32 v55, 0xbaee, v0
	v_lshrrev_b32_e32 v0, 16, v58
	v_fma_f16 v54, v62, v238, -v4
	v_fmac_f16_e64 v10, v7, v162
	v_lshrrev_b32_e32 v7, 16, v23
	v_lshrrev_b32_e32 v126, 16, v165
	v_fmac_f16_e64 v1, v0, v240
	v_mul_f16_e64 v0, v0, v255
	s_delay_alu instid0(VALU_DEP_4) | instskip(NEXT) | instid1(VALU_DEP_2)
	v_mul_f16_e64 v11, v7, v146
	v_fma_f16 v0, v58, v240, -v0
	v_mul_f16_e64 v58, v23, v146
	s_delay_alu instid0(VALU_DEP_3) | instskip(NEXT) | instid1(VALU_DEP_3)
	v_fma_f16 v11, v23, v164, -v11
	v_add_f16_e32 v4, v0, v2
	v_add_f16_e32 v5, v54, v0
	v_sub_f16_e32 v0, v0, v2
	v_fmac_f16_e64 v58, v7, v164
	v_mul_u32_u24_e32 v7, 0x2d83, v32
	v_fmac_f16_e32 v54, -0.5, v4
	v_sub_f16_e32 v4, v1, v3
	v_add_f16_e32 v2, v5, v2
	s_delay_alu instid0(VALU_DEP_4) | instskip(NEXT) | instid1(VALU_DEP_3)
	v_lshrrev_b32_e32 v7, 20, v7
	v_fmamk_f16 v6, v4, 0x3aee, v54
	v_fmac_f16_e32 v54, 0xbaee, v4
	v_add_f16_e32 v4, v1, v3
	v_add_f16_e32 v1, v53, v1
	v_mul_lo_u16 v32, 0x5a, v7
	v_mul_f16_e32 v5, 0xbaee, v6
	s_delay_alu instid0(VALU_DEP_4) | instskip(NEXT) | instid1(VALU_DEP_4)
	v_fmac_f16_e32 v53, -0.5, v4
	v_add_f16_e32 v1, v1, v3
	s_delay_alu instid0(VALU_DEP_4) | instskip(SKIP_1) | instid1(VALU_DEP_4)
	v_sub_nc_u16 v115, v29, v32
	v_mul_u32_u24_e32 v29, 0x2d83, v31
	v_fmamk_f16 v4, v0, 0xbaee, v53
	v_fmac_f16_e32 v53, 0x3aee, v0
	v_mul_f16_e32 v0, -0.5, v54
	s_delay_alu instid0(VALU_DEP_4)
	v_lshrrev_b32_e32 v129, 20, v29
	v_mad_u16 v7, 0x21c, v7, v115
	v_mul_f16_e32 v3, 0x3aee, v4
	v_fmac_f16_e32 v5, 0.5, v4
	v_fmac_f16_e32 v0, 0x3aee, v53
	v_mul_lo_u16 v29, 0x5a, v129
	v_and_b32_e32 v7, 0xffff, v7
	v_fmac_f16_e32 v3, 0.5, v6
	v_mad_u16 v4, 0x21c, v12, v13
	v_add_f16_e32 v9, v55, v0
	v_sub_f16_e32 v0, v55, v0
	v_lshrrev_b32_e32 v55, 16, v35
	v_sub_nc_u16 v133, v30, v29
	v_lshlrev_b32_e32 v250, 2, v7
	v_and_b32_e32 v4, 0xffff, v4
	v_add_f16_e32 v12, v47, v3
	v_mul_f16_e64 v22, v55, v150
	v_fmac_f16_e64 v88, v55, v155
	s_delay_alu instid0(VALU_DEP_4) | instskip(SKIP_1) | instid1(VALU_DEP_4)
	v_lshlrev_b32_e32 v215, 2, v4
	v_mul_f16_e32 v4, -0.5, v53
	v_fma_f16 v60, v35, v155, -v22
	ds_load_2addr_b32 v[34:35], v160 offset0:56 offset1:164
	v_fmac_f16_e32 v4, 0xbaee, v54
	s_wait_dscnt 0x0
	v_lshrrev_b32_e32 v21, 16, v34
	v_mul_f16_e64 v94, v34, v132
	v_lshrrev_b32_e32 v56, 16, v35
	s_delay_alu instid0(VALU_DEP_2) | instskip(SKIP_1) | instid1(VALU_DEP_1)
	v_fmac_f16_e64 v94, v21, v163
	v_mul_f16_e64 v21, v21, v132
	v_fma_f16 v99, v34, v163, -v21
	v_mad_co_u64_u32 v[20:21], null, v96, 20, s[6:7]
	s_clause 0x1
	global_load_b32 v216, v[20:21], off offset:364
	global_load_b128 v[141:144], v[20:21], off offset:348
	ds_load_2addr_b32 v[29:30], v151 offset1:108
	s_wait_dscnt 0x0
	v_lshrrev_b32_e32 v116, 16, v30
	v_lshrrev_b32_e32 v170, 16, v29
	s_wait_loadcnt 0x1
	v_lshrrev_b32_e32 v224, 16, v216
	s_wait_loadcnt 0x0
	v_lshrrev_b32_e32 v157, 16, v142
	v_lshrrev_b32_e32 v204, 16, v144
	;; [unrolled: 1-line block ×4, first 2 shown]
	s_delay_alu instid0(VALU_DEP_4) | instskip(SKIP_1) | instid1(VALU_DEP_2)
	v_mul_f16_e64 v34, v56, v157
	v_mul_f16_e64 v106, v35, v157
	v_fma_f16 v102, v35, v142, -v34
	ds_load_2addr_b32 v[34:35], v159 offset0:112 offset1:220
	v_fmac_f16_e64 v106, v56, v142
	ds_load_2addr_b32 v[55:56], v223 offset0:64 offset1:172
	v_add_f16_e32 v118, v30, v102
	s_wait_dscnt 0x1
	v_lshrrev_b32_e32 v62, 16, v34
	v_mul_f16_e64 v109, v35, v204
	s_wait_dscnt 0x0
	v_mul_f16_e64 v32, v55, v137
	s_delay_alu instid0(VALU_DEP_3) | instskip(NEXT) | instid1(VALU_DEP_1)
	v_mul_f16_e32 v63, v62, v126
	v_fma_f16 v104, v34, v165, -v63
	v_lshrrev_b32_e32 v63, 16, v35
	v_mul_f16_e32 v34, v34, v126
	s_delay_alu instid0(VALU_DEP_2) | instskip(NEXT) | instid1(VALU_DEP_2)
	v_mul_f16_e64 v90, v63, v204
	v_fmac_f16_e64 v34, v62, v165
	v_fmac_f16_e64 v109, v63, v144
	ds_load_2addr_b32 v[62:63], v93 offset0:120 offset1:228
	v_fma_f16 v107, v35, v144, -v90
	ds_load_2addr_b32 v[90:91], v114 offset0:136 offset1:244
	v_add_f16_e32 v31, v102, v107
	s_delay_alu instid0(VALU_DEP_1) | instskip(SKIP_1) | instid1(VALU_DEP_1)
	v_fmac_f16_e32 v30, -0.5, v31
	v_sub_f16_e32 v31, v106, v109
	v_fmamk_f16 v119, v31, 0x3aee, v30
	v_fmac_f16_e32 v30, 0xbaee, v31
	v_lshrrev_b32_e32 v31, 16, v55
	s_wait_dscnt 0x1
	v_lshrrev_b32_e32 v35, 16, v62
	v_mul_f16_e64 v134, v62, v224
	s_wait_dscnt 0x0
	v_lshrrev_b32_e32 v105, 16, v90
	v_mul_f16_e64 v135, v90, v236
	v_fmac_f16_e64 v32, v31, v143
	v_mul_f16_e64 v31, v31, v137
	v_fmac_f16_e64 v134, v35, v216
	v_mul_f16_e64 v35, v35, v224
	v_fmac_f16_e64 v135, v105, v141
	v_mul_f16_e64 v105, v105, v236
	v_fma_f16 v31, v55, v143, -v31
	s_delay_alu instid0(VALU_DEP_4) | instskip(NEXT) | instid1(VALU_DEP_4)
	v_fma_f16 v55, v62, v216, -v35
	v_add_f16_e64 v139, v135, v32
	s_delay_alu instid0(VALU_DEP_4) | instskip(NEXT) | instid1(VALU_DEP_3)
	v_fma_f16 v62, v90, v141, -v105
	v_add_f16_e32 v35, v31, v55
	s_delay_alu instid0(VALU_DEP_2) | instskip(SKIP_1) | instid1(VALU_DEP_3)
	v_add_f16_e32 v90, v62, v31
	v_sub_f16_e32 v31, v31, v55
	v_fmac_f16_e32 v62, -0.5, v35
	v_sub_f16_e64 v35, v32, v134
	s_delay_alu instid0(VALU_DEP_4) | instskip(NEXT) | instid1(VALU_DEP_2)
	v_add_f16_e32 v55, v90, v55
	v_fma_f16 v138, 0x3aee, v35, v62
	v_fmac_f16_e32 v62, 0xbaee, v35
	v_add_f16_e64 v35, v32, v134
	v_add_f16_e32 v32, v99, v104
	s_delay_alu instid0(VALU_DEP_4) | instskip(NEXT) | instid1(VALU_DEP_3)
	v_mul_f16_e64 v90, 0xbaee, v138
	v_fmac_f16_e64 v135, -0.5, v35
	s_delay_alu instid0(VALU_DEP_3) | instskip(SKIP_2) | instid1(VALU_DEP_4)
	v_fma_f16 v145, -0.5, v32, v29
	v_add_f16_e32 v29, v29, v99
	v_sub_f16_e32 v99, v99, v104
	v_fma_f16 v140, 0xbaee, v31, v135
	v_fmac_f16_e64 v135, 0x3aee, v31
	v_mul_f16_e32 v31, -0.5, v62
	v_add_f16_e64 v172, v29, v104
	v_add_f16_e32 v29, v58, v88
	v_fmac_f16_e64 v90, 0.5, v140
	s_delay_alu instid0(VALU_DEP_4) | instskip(NEXT) | instid1(VALU_DEP_1)
	v_fmac_f16_e64 v31, 0x3aee, v135
	v_add_f16_e64 v166, v30, v31
	v_sub_f16_e64 v169, v30, v31
	v_add_f16_e32 v31, v94, v34
	v_add_f16_e64 v30, v170, v94
	v_sub_f16_e32 v94, v94, v34
	s_delay_alu instid0(VALU_DEP_3) | instskip(SKIP_1) | instid1(VALU_DEP_4)
	v_fmac_f16_e64 v170, -0.5, v31
	v_add_f16_e32 v31, v11, v60
	v_add_f16_e64 v171, v30, v34
	v_add_f16_e32 v30, v10, v58
	v_fmac_f16_e32 v10, -0.5, v29
	v_add_f16_e32 v29, v8, v11
	v_sub_f16_e32 v11, v11, v60
	v_fmac_f16_e32 v8, -0.5, v31
	v_sub_f16_e32 v58, v58, v88
	v_add_f16_e64 v173, v30, v88
	v_add_f16_e32 v60, v29, v60
	v_fmamk_f16 v29, v11, 0xbaee, v10
	v_fma_f16 v180, 0x3aee, v94, v145
	v_fmamk_f16 v30, v58, 0x3aee, v8
	v_fma_f16 v182, 0xbaee, v99, v170
	v_add_f16_e64 v28, v172, v60
	v_mul_f16_e64 v175, 0x3aee, v29
	v_fmac_f16_e32 v8, 0xbaee, v58
	v_mul_f16_e64 v176, 0xbaee, v30
	v_fmac_f16_e32 v10, 0x3aee, v11
	v_fmac_f16_e64 v145, 0xbaee, v94
	v_fmac_f16_e64 v175, 0.5, v30
	v_mul_f16_e32 v11, -0.5, v8
	v_fmac_f16_e64 v176, 0.5, v29
	v_add_f16_e64 v29, v171, v173
	v_fmac_f16_e64 v170, 0x3aee, v99
	v_sub_f16_e64 v58, v171, v173
	v_fmac_f16_e32 v11, 0x3aee, v10
	v_mul_f16_e32 v10, -0.5, v10
	v_pack_b32_f16 v177, v28, v29
	v_add_f16_e64 v28, v180, v175
	v_add_f16_e64 v29, v182, v176
	s_delay_alu instid0(VALU_DEP_4) | instskip(SKIP_2) | instid1(VALU_DEP_4)
	v_fmac_f16_e32 v10, 0xbaee, v8
	v_sub_f16_e64 v8, v172, v60
	v_add_f16_e64 v60, v145, v11
	v_pack_b32_f16 v184, v28, v29
	v_mul_lo_u16 v28, v133, 20
	v_mul_lo_u16 v29, v115, 20
	v_add_f16_e64 v94, v170, v10
	v_pack_b32_f16 v8, v8, v58
	v_sub_f16_e64 v11, v145, v11
	v_and_b32_e32 v28, 0xffff, v28
	v_and_b32_e32 v30, 0xffff, v29
	v_pack_b32_f16 v60, v60, v94
	v_sub_f16_e64 v58, v182, v176
	v_sub_f16_e64 v10, v170, v10
	v_add_co_u32 v28, s2, s6, v28
	s_wait_alu 0xf1ff
	v_add_co_ci_u32_e64 v29, null, s7, 0, s2
	v_add_co_u32 v30, s2, s6, v30
	s_wait_alu 0xf1ff
	v_add_co_ci_u32_e64 v31, null, s7, 0, s2
	s_clause 0x3
	global_load_b32 v220, v[28:29], off offset:364
	global_load_b32 v229, v[30:31], off offset:364
	global_load_b128 v[32:35], v[30:31], off offset:348
	global_load_b128 v[122:125], v[28:29], off offset:348
	ds_load_2addr_b32 v[120:121], v113 offset0:88 offset1:196
	ds_load_2addr_b32 v[104:105], v111 offset0:16 offset1:124
	;; [unrolled: 1-line block ×3, first 2 shown]
	global_wb scope:SCOPE_SE
	s_wait_loadcnt_dscnt 0x0
	s_barrier_signal -1
	s_barrier_wait -1
	global_inv scope:SCOPE_SE
	ds_store_2addr_b32 v16, v60, v8 offset0:52 offset1:142
	v_sub_f16_e64 v8, v180, v175
	v_pack_b32_f16 v10, v11, v10
	v_add_nc_u32_e32 v11, 0x400, v210
	v_mul_f16_e64 v60, 0x3aee, v140
	ds_store_2addr_b32 v210, v177, v184 offset1:90
	v_pack_b32_f16 v8, v8, v58
	v_add_f16_e64 v58, v139, v134
	scratch_store_b32 off, v11, off offset:352 ; 4-byte Folded Spill
	v_fmac_f16_e64 v60, 0.5, v138
	v_lshrrev_b32_e32 v139, 16, v59
	ds_store_2addr_b32 v11, v8, v10 offset0:104 offset1:194
	v_add_f16_e32 v8, v116, v106
	v_add_f16_e32 v10, v106, v109
	v_sub_f16_e32 v11, v102, v107
	v_add_f16_e32 v96, v119, v60
	s_add_nc_u64 s[2:3], s[4:5], 0x32a0
	v_add_f16_e32 v8, v8, v109
	v_fmac_f16_e32 v116, -0.5, v10
	v_add_f16_e32 v10, v118, v107
	v_lshrrev_b32_e32 v107, 16, v57
	s_delay_alu instid0(VALU_DEP_4) | instskip(SKIP_1) | instid1(VALU_DEP_4)
	v_add_f16_e32 v94, v8, v58
	v_sub_f16_e32 v8, v8, v58
	v_add_f16_e32 v92, v10, v55
	v_sub_f16_e32 v10, v10, v55
	s_delay_alu instid0(VALU_DEP_2)
	v_pack_b32_f16 v92, v92, v94
	v_fmamk_f16 v94, v11, 0xbaee, v116
	v_fmac_f16_e32 v116, 0x3aee, v11
	v_mul_f16_e64 v11, -0.5, v135
	v_pack_b32_f16 v8, v10, v8
	v_add_nc_u32_e32 v10, 0x200, v202
	v_add_f16_e32 v102, v94, v90
	v_lshrrev_b32_e32 v135, 16, v128
	v_fmac_f16_e32 v11, 0xbaee, v62
	scratch_store_b32 off, v10, off offset:336 ; 4-byte Folded Spill
	v_pack_b32_f16 v96, v96, v102
	v_add_f16_e32 v55, v116, v11
	v_sub_f16_e32 v11, v116, v11
	ds_store_2addr_b32 v202, v92, v96 offset1:90
	v_pack_b32_f16 v55, v166, v55
	ds_store_2addr_b32 v10, v55, v8 offset0:52 offset1:142
	v_sub_f16_e32 v8, v119, v60
	v_sub_f16_e32 v10, v94, v90
	v_lshrrev_b32_e32 v55, 16, v56
	v_lshrrev_b32_e32 v60, 16, v63
	;; [unrolled: 1-line block ×3, first 2 shown]
	s_delay_alu instid0(VALU_DEP_4)
	v_pack_b32_f16 v8, v8, v10
	v_pack_b32_f16 v10, v169, v11
	v_add_nc_u32_e32 v11, 0x400, v202
	scratch_store_b32 off, v11, off offset:340 ; 4-byte Folded Spill
	ds_store_2addr_b32 v11, v8, v10 offset0:104 offset1:194
	v_lshrrev_b32_e32 v8, 16, v91
	scratch_store_b32 off, v16, off offset:348 ; 4-byte Folded Spill
	v_add_nc_u32_e32 v16, 0x200, v250
	v_lshrrev_b32_e32 v219, 16, v220
	v_lshrrev_b32_e32 v245, 16, v229
	;; [unrolled: 1-line block ×6, first 2 shown]
	v_mul_f16_e64 v62, v60, v245
	v_mul_f16_e32 v11, v91, v116
	v_mul_f16_e32 v58, v55, v96
	;; [unrolled: 1-line block ×3, first 2 shown]
	v_lshrrev_b32_e32 v99, 16, v123
	v_fma_f16 v62, v63, v229, -v62
	v_fmac_f16_e32 v11, v8, v32
	v_fma_f16 v58, v56, v34, -v58
	v_mul_f16_e32 v56, v56, v96
	v_lshrrev_b32_e32 v8, 16, v61
	v_mul_f16_e64 v63, v63, v245
	v_fma_f16 v10, v91, v32, -v10
	v_mul_f16_e32 v92, v104, v118
	v_fmac_f16_e32 v56, v55, v34
	v_mul_f16_e32 v55, v8, v29
	v_fmac_f16_e64 v63, v60, v229
	v_mul_f16_e32 v60, v61, v29
	v_mul_f16_e32 v91, v94, v99
	v_lshrrev_b32_e32 v119, 16, v35
	v_fma_f16 v55, v61, v122, -v55
	v_lshrrev_b32_e32 v61, 16, v104
	v_mul_f16_e64 v140, v139, v219
	v_fma_f16 v102, v105, v123, -v91
	v_lshrrev_b32_e32 v91, 16, v124
	v_mul_f16_e64 v134, v127, v119
	v_fmac_f16_e32 v92, v61, v33
	v_mul_f16_e32 v61, v61, v118
	v_mul_f16_e32 v105, v105, v99
	v_fmac_f16_e32 v60, v8, v122
	v_fma_f16 v140, v59, v220, -v140
	v_mul_f16_e64 v59, v59, v219
	v_fma_f16 v61, v104, v33, -v61
	v_mul_f16_e32 v104, v107, v91
	v_fmac_f16_e32 v105, v94, v123
	v_lshrrev_b32_e32 v94, 16, v121
	v_fmac_f16_e64 v59, v139, v220
	s_delay_alu instid0(VALU_DEP_4) | instskip(SKIP_2) | instid1(VALU_DEP_3)
	v_fma_f16 v109, v57, v124, -v104
	v_lshrrev_b32_e32 v104, 16, v127
	v_mul_f16_e32 v57, v57, v91
	v_add_f16_e64 v139, v55, v109
	s_delay_alu instid0(VALU_DEP_3) | instskip(SKIP_1) | instid1(VALU_DEP_4)
	v_fmac_f16_e64 v134, v104, v35
	v_mul_f16_e32 v104, v104, v119
	v_fmac_f16_e32 v57, v107, v124
	v_add_f16_e32 v107, v121, v102
	s_delay_alu instid0(VALU_DEP_4) | instskip(NEXT) | instid1(VALU_DEP_4)
	v_add_f16_e64 v171, v92, v134
	v_fma_f16 v127, v127, v35, -v104
	v_lshrrev_b32_e32 v104, 16, v125
	s_delay_alu instid0(VALU_DEP_2) | instskip(NEXT) | instid1(VALU_DEP_2)
	v_add_f16_e64 v166, v61, v127
	v_mul_f16_e64 v138, v135, v104
	s_delay_alu instid0(VALU_DEP_2) | instskip(NEXT) | instid1(VALU_DEP_2)
	v_fma_f16 v166, -0.5, v166, v120
	v_fma_f16 v138, v128, v125, -v138
	v_mul_f16_e64 v128, v128, v104
	s_delay_alu instid0(VALU_DEP_2) | instskip(NEXT) | instid1(VALU_DEP_2)
	v_add_f16_e64 v8, v102, v138
	v_fmac_f16_e64 v128, v135, v125
	s_delay_alu instid0(VALU_DEP_2) | instskip(NEXT) | instid1(VALU_DEP_2)
	v_fmac_f16_e32 v121, -0.5, v8
	v_sub_f16_e64 v8, v105, v128
	s_delay_alu instid0(VALU_DEP_1) | instskip(SKIP_2) | instid1(VALU_DEP_1)
	v_fma_f16 v135, 0x3aee, v8, v121
	v_fmac_f16_e32 v121, 0xbaee, v8
	v_add_f16_e64 v8, v109, v140
	v_fmac_f16_e32 v55, -0.5, v8
	v_sub_f16_e32 v8, v57, v59
	s_delay_alu instid0(VALU_DEP_1) | instskip(SKIP_3) | instid1(VALU_DEP_2)
	v_fma_f16 v145, 0x3aee, v8, v55
	v_fmac_f16_e32 v55, 0xbaee, v8
	v_add_f16_e32 v8, v57, v59
	v_add_f16_e32 v57, v60, v57
	v_fmac_f16_e32 v60, -0.5, v8
	v_sub_f16_e64 v8, v109, v140
	s_delay_alu instid0(VALU_DEP_3) | instskip(SKIP_1) | instid1(VALU_DEP_3)
	v_add_f16_e32 v57, v57, v59
	v_mul_f16_e64 v59, 0xbaee, v145
	v_fmamk_f16 v109, v8, 0xbaee, v60
	v_fmac_f16_e32 v60, 0x3aee, v8
	v_mul_f16_e32 v8, -0.5, v55
	s_delay_alu instid0(VALU_DEP_3) | instskip(NEXT) | instid1(VALU_DEP_2)
	v_fmac_f16_e32 v59, 0.5, v109
	v_fmac_f16_e32 v8, 0x3aee, v60
	s_delay_alu instid0(VALU_DEP_1) | instskip(SKIP_4) | instid1(VALU_DEP_3)
	v_add_f16_e64 v169, v121, v8
	v_sub_f16_e32 v8, v121, v8
	v_lshrrev_b32_e32 v121, 16, v120
	v_add_f16_e32 v120, v120, v61
	v_sub_f16_e32 v61, v61, v127
	v_add_f16_e64 v170, v121, v92
	s_delay_alu instid0(VALU_DEP_3)
	v_add_f16_e32 v120, v120, v127
	v_add_f16_e32 v127, v56, v63
	v_sub_f16_e64 v92, v92, v134
	v_fmac_f16_e64 v121, -0.5, v171
	v_add_f16_e64 v134, v170, v134
	v_add_f16_e64 v170, v11, v56
	v_fmac_f16_e32 v11, -0.5, v127
	v_add_f16_e32 v127, v10, v58
	v_add_f16_e64 v171, v58, v62
	v_sub_f16_e32 v58, v58, v62
	v_sub_f16_e32 v56, v56, v63
	v_add_f16_e64 v63, v170, v63
	v_add_f16_e32 v62, v127, v62
	v_fmac_f16_e64 v10, -0.5, v171
	v_fmamk_f16 v127, v58, 0xbaee, v11
	v_fmac_f16_e32 v11, 0x3aee, v58
	v_fma_f16 v172, 0xbaee, v61, v121
	v_add_f16_e32 v115, v120, v62
	v_fma_f16 v170, 0x3aee, v56, v10
	v_mul_f16_e64 v171, 0x3aee, v127
	v_fmac_f16_e32 v10, 0xbaee, v56
	v_fmac_f16_e32 v121, 0x3aee, v61
	v_sub_f16_e64 v56, v134, v63
	s_delay_alu instid0(VALU_DEP_4) | instskip(SKIP_2) | instid1(VALU_DEP_2)
	v_fmac_f16_e64 v171, 0.5, v170
	v_mul_f16_e64 v170, 0xbaee, v170
	v_mul_f16_e32 v7, -0.5, v10
	v_fmac_f16_e64 v170, 0.5, v127
	v_add_f16_e64 v127, v134, v63
	s_delay_alu instid0(VALU_DEP_3) | instskip(SKIP_1) | instid1(VALU_DEP_4)
	v_fmac_f16_e32 v7, 0x3aee, v11
	v_mul_f16_e32 v11, -0.5, v11
	v_add_f16_e64 v175, v172, v170
	s_delay_alu instid0(VALU_DEP_4) | instskip(SKIP_4) | instid1(VALU_DEP_4)
	v_pack_b32_f16 v115, v115, v127
	v_fma_f16 v127, 0x3aee, v92, v166
	v_fmac_f16_e64 v166, 0xbaee, v92
	v_fmac_f16_e32 v11, 0xbaee, v10
	v_sub_f16_e32 v10, v120, v62
	v_add_f16_e64 v173, v127, v171
	s_delay_alu instid0(VALU_DEP_4) | instskip(NEXT) | instid1(VALU_DEP_4)
	v_add_f16_e64 v58, v166, v7
	v_add_f16_e32 v61, v121, v11
	s_delay_alu instid0(VALU_DEP_4)
	v_pack_b32_f16 v10, v10, v56
	v_sub_f16_e64 v7, v166, v7
	v_sub_f16_e64 v56, v172, v170
	v_sub_f16_e32 v11, v121, v11
	v_pack_b32_f16 v58, v58, v61
	v_mad_u16 v61, 0x21c, v129, v133
	v_pack_b32_f16 v173, v173, v175
	s_delay_alu instid0(VALU_DEP_4)
	v_pack_b32_f16 v7, v7, v11
	ds_store_2addr_b32 v16, v58, v10 offset0:52 offset1:142
	v_sub_f16_e64 v10, v127, v171
	v_add_nc_u32_e32 v11, 0x400, v250
	v_and_b32_e32 v61, 0xffff, v61
	v_mul_f16_e32 v58, 0x3aee, v109
	ds_store_2addr_b32 v250, v115, v173 offset1:90
	v_pack_b32_f16 v10, v10, v56
	v_add_f16_e64 v56, v139, v140
	v_lshlrev_b32_e32 v249, 2, v61
	scratch_store_b32 off, v11, off offset:364 ; 4-byte Folded Spill
	v_fmac_f16_e64 v58, 0.5, v145
	ds_store_2addr_b32 v11, v10, v7 offset0:104 offset1:194
	v_add_f16_e32 v7, v94, v105
	v_add_f16_e64 v10, v105, v128
	v_sub_f16_e64 v11, v102, v138
	v_add_f16_e64 v92, v135, v58
	s_delay_alu instid0(VALU_DEP_4) | instskip(NEXT) | instid1(VALU_DEP_4)
	v_add_f16_e64 v7, v7, v128
	v_fmac_f16_e32 v94, -0.5, v10
	v_add_f16_e64 v10, v107, v138
	s_delay_alu instid0(VALU_DEP_3) | instskip(SKIP_1) | instid1(VALU_DEP_3)
	v_add_f16_e32 v63, v7, v57
	v_sub_f16_e32 v7, v7, v57
	v_add_f16_e32 v62, v10, v56
	v_sub_f16_e32 v10, v10, v56
	v_mad_co_u64_u32 v[56:57], null, v153, 20, s[6:7]
	s_delay_alu instid0(VALU_DEP_3) | instskip(NEXT) | instid1(VALU_DEP_3)
	v_pack_b32_f16 v62, v62, v63
	v_pack_b32_f16 v7, v10, v7
	v_add_nc_u32_e32 v10, 0x200, v249
	scratch_store_b32 off, v16, off offset:360 ; 4-byte Folded Spill
	v_fmamk_f16 v63, v11, 0xbaee, v94
	v_fmac_f16_e32 v94, 0x3aee, v11
	v_mul_f16_e32 v11, -0.5, v60
	scratch_store_b32 off, v10, off offset:356 ; 4-byte Folded Spill
	v_add_f16_e32 v102, v63, v59
	v_fmac_f16_e32 v11, 0xbaee, v55
	s_delay_alu instid0(VALU_DEP_2) | instskip(NEXT) | instid1(VALU_DEP_2)
	v_pack_b32_f16 v92, v92, v102
	v_add_f16_e32 v55, v94, v11
	v_sub_f16_e32 v11, v94, v11
	ds_store_2addr_b32 v249, v62, v92 offset1:90
	v_pack_b32_f16 v55, v169, v55
	v_pack_b32_f16 v8, v8, v11
	ds_store_2addr_b32 v10, v55, v7 offset0:52 offset1:142
	v_sub_f16_e64 v7, v135, v58
	v_sub_f16_e32 v10, v63, v59
	s_delay_alu instid0(VALU_DEP_1)
	v_pack_b32_f16 v7, v7, v10
	v_add_nc_u32_e32 v10, 0x400, v249
	ds_store_2addr_b32 v10, v7, v8 offset0:104 offset1:194
	v_add_f16_e32 v7, v46, v14
	v_add_f16_e32 v8, v14, v44
	scratch_store_b32 off, v10, off offset:344 ; 4-byte Folded Spill
	v_sub_f16_e32 v10, v15, v45
	v_add_f16_e32 v7, v7, v44
	v_fmac_f16_e32 v46, -0.5, v8
	v_add_f16_e32 v8, v52, v45
	s_delay_alu instid0(VALU_DEP_3) | instskip(SKIP_1) | instid1(VALU_DEP_3)
	v_add_f16_e32 v11, v7, v1
	v_sub_f16_e32 v1, v7, v1
	v_add_f16_e32 v6, v8, v2
	v_sub_f16_e32 v2, v8, v2
	s_delay_alu instid0(VALU_DEP_2) | instskip(SKIP_2) | instid1(VALU_DEP_4)
	v_pack_b32_f16 v6, v6, v11
	v_fmamk_f16 v11, v10, 0xbaee, v46
	v_fmac_f16_e32 v46, 0x3aee, v10
	v_pack_b32_f16 v1, v2, v1
	v_add_nc_u32_e32 v2, 0x200, v215
	s_delay_alu instid0(VALU_DEP_4) | instskip(SKIP_4) | instid1(VALU_DEP_1)
	v_add_f16_e32 v13, v11, v5
	scratch_store_b32 off, v2, off offset:328 ; 4-byte Folded Spill
	v_pack_b32_f16 v12, v12, v13
	ds_store_2addr_b32 v215, v6, v12 offset1:90
	v_add_f16_e32 v6, v46, v4
	v_pack_b32_f16 v6, v9, v6
	ds_store_2addr_b32 v2, v6, v1 offset0:52 offset1:142
	v_sub_f16_e32 v1, v47, v3
	v_sub_f16_e32 v2, v11, v5
	;; [unrolled: 1-line block ×3, first 2 shown]
	s_delay_alu instid0(VALU_DEP_2) | instskip(NEXT) | instid1(VALU_DEP_2)
	v_pack_b32_f16 v1, v1, v2
	v_pack_b32_f16 v0, v0, v3
	v_add_nc_u32_e32 v2, 0x400, v215
	scratch_store_b32 off, v2, off offset:332 ; 4-byte Folded Spill
	ds_store_2addr_b32 v2, v1, v0 offset0:104 offset1:194
	global_wb scope:SCOPE_SE
	s_wait_storecnt_dscnt 0x0
	s_barrier_signal -1
	s_barrier_wait -1
	global_inv scope:SCOPE_SE
	s_clause 0x1
	global_load_b32 v175, v[56:57], off offset:10804
	global_load_b128 v[106:109], v[56:57], off offset:10788
	ds_load_2addr_b32 v[52:53], v112 offset0:104 offset1:212
	ds_load_2addr_b32 v[54:55], v190 offset0:32 offset1:140
	;; [unrolled: 1-line block ×6, first 2 shown]
	s_clause 0x1
	global_load_b32 v182, v[56:57], off offset:2164
	global_load_b128 v[44:47], v[56:57], off offset:2148
	s_wait_dscnt 0x5
	v_lshrrev_b32_e32 v0, 16, v52
	s_wait_dscnt 0x4
	v_lshrrev_b32_e32 v1, 16, v54
	;; [unrolled: 2-line block ×3, first 2 shown]
	v_lshrrev_b32_e32 v5, 16, v55
	s_wait_dscnt 0x1
	v_lshrrev_b32_e32 v2, 16, v20
	s_wait_dscnt 0x0
	v_lshrrev_b32_e32 v15, 16, v128
	v_lshrrev_b32_e32 v14, 16, v172
	s_wait_loadcnt 0x3
	v_lshrrev_b32_e32 v3, 16, v175
	s_wait_loadcnt 0x2
	v_lshrrev_b32_e32 v138, 16, v107
	v_lshrrev_b32_e32 v135, 16, v109
	;; [unrolled: 1-line block ×4, first 2 shown]
	v_mul_f16_e64 v194, v20, v3
	v_mul_f16_e64 v133, v52, v138
	;; [unrolled: 1-line block ×3, first 2 shown]
	s_wait_loadcnt 0x0
	v_lshrrev_b32_e32 v94, 16, v44
	v_mul_f16_e64 v188, v129, v140
	v_fmac_f16_e64 v194, v2, v175
	v_fmac_f16_e64 v133, v0, v107
	v_mul_f16_e64 v0, v0, v138
	v_fmac_f16_e64 v187, v1, v109
	v_mul_f16_e64 v1, v1, v135
	v_mul_f16_e32 v2, v2, v3
	v_lshrrev_b32_e32 v3, 16, v129
	v_fma_f16 v185, v52, v107, -v0
	v_lshrrev_b32_e32 v6, 16, v182
	v_fma_f16 v186, v54, v109, -v1
	v_mul_f16_e64 v1, v173, v139
	v_fmac_f16_e64 v188, v3, v106
	v_add_f16_e64 v193, v58, v185
	v_mul_f16_e64 v3, v3, v140
	v_add_f16_e64 v0, v185, v186
	v_fma_f16 v26, v20, v175, -v2
	v_mul_f16_e32 v52, v5, v6
	v_lshrrev_b32_e32 v102, 16, v45
	v_fma_f16 v189, v129, v106, -v3
	v_fmac_f16_e32 v58, -0.5, v0
	v_sub_f16_e64 v0, v133, v187
	v_lshrrev_b32_e32 v92, 16, v46
	v_fma_f16 v60, v55, v182, -v52
	v_mul_f16_e32 v61, v55, v6
	v_lshrrev_b32_e32 v121, 16, v47
	v_fma_f16 v180, 0x3aee, v0, v58
	v_fmac_f16_e32 v58, 0xbaee, v0
	v_lshrrev_b32_e32 v0, 16, v173
	v_mul_f16_e32 v4, v53, v92
	v_fmac_f16_e64 v61, v5, v182
	s_delay_alu instid0(VALU_DEP_3) | instskip(SKIP_1) | instid1(VALU_DEP_2)
	v_fmac_f16_e32 v1, v0, v108
	v_mul_f16_e64 v0, v0, v139
	v_add_f16_e64 v85, v188, v1
	s_delay_alu instid0(VALU_DEP_2) | instskip(NEXT) | instid1(VALU_DEP_1)
	v_fma_f16 v0, v173, v108, -v0
	v_add_f16_e32 v2, v0, v26
	v_add_f16_e64 v86, v189, v0
	v_sub_f16_e32 v0, v0, v26
	s_delay_alu instid0(VALU_DEP_3) | instskip(SKIP_1) | instid1(VALU_DEP_1)
	v_fmac_f16_e64 v189, -0.5, v2
	v_sub_f16_e64 v2, v1, v194
	v_fma_f16 v129, 0x3aee, v2, v189
	v_fmac_f16_e64 v189, 0xbaee, v2
	v_add_f16_e64 v2, v1, v194
	v_lshrrev_b32_e32 v1, 16, v59
	s_delay_alu instid0(VALU_DEP_2) | instskip(NEXT) | instid1(VALU_DEP_2)
	v_fmac_f16_e64 v188, -0.5, v2
	v_mul_f16_e32 v2, v1, v94
	s_delay_alu instid0(VALU_DEP_2) | instskip(SKIP_2) | instid1(VALU_DEP_4)
	v_fma_f16 v28, 0xbaee, v0, v188
	v_fmac_f16_e64 v188, 0x3aee, v0
	v_mul_f16_e64 v0, -0.5, v189
	v_fma_f16 v2, v59, v44, -v2
	s_delay_alu instid0(VALU_DEP_2) | instskip(NEXT) | instid1(VALU_DEP_1)
	v_fmac_f16_e64 v0, 0x3aee, v188
	v_add_f16_e32 v64, v58, v0
	v_sub_f16_e64 v145, v58, v0
	v_mul_f16_e32 v0, v59, v94
	ds_load_2addr_b32 v[58:59], v160 offset0:56 offset1:164
	v_fmac_f16_e32 v0, v1, v44
	v_lshrrev_b32_e32 v1, 16, v53
	s_delay_alu instid0(VALU_DEP_1) | instskip(SKIP_1) | instid1(VALU_DEP_2)
	v_mul_f16_e32 v3, v1, v92
	v_fmac_f16_e32 v4, v1, v46
	v_fma_f16 v3, v53, v46, -v3
	s_wait_dscnt 0x0
	v_lshrrev_b32_e32 v52, 16, v58
	v_mul_f16_e32 v62, v58, v102
	v_lshrrev_b32_e32 v115, 16, v59
	s_delay_alu instid0(VALU_DEP_2) | instskip(SKIP_1) | instid1(VALU_DEP_1)
	v_fmac_f16_e32 v62, v52, v45
	v_mul_f16_e32 v52, v52, v102
	v_fma_f16 v63, v58, v45, -v52
	s_clause 0x1
	global_load_b32 v184, v[56:57], off offset:4324
	global_load_b128 v[52:55], v[56:57], off offset:4308
	ds_load_2addr_b32 v[191:192], v93 offset0:120 offset1:228
	ds_load_2addr_b32 v[195:196], v114 offset0:136 offset1:244
	s_wait_dscnt 0x0
	v_lshrrev_b32_e32 v244, 16, v195
	s_wait_loadcnt 0x1
	v_lshrrev_b32_e32 v6, 16, v184
	s_wait_loadcnt 0x0
	v_lshrrev_b32_e32 v90, 16, v53
	s_delay_alu instid0(VALU_DEP_2) | instskip(NEXT) | instid1(VALU_DEP_2)
	v_mul_f16_e64 v173, v191, v6
	v_mul_f16_e32 v58, v115, v90
	v_mul_f16_e64 v134, v59, v90
	s_delay_alu instid0(VALU_DEP_2)
	v_fma_f16 v205, v59, v53, -v58
	ds_load_2addr_b32 v[58:59], v159 offset0:112 offset1:220
	v_fmac_f16_e64 v134, v115, v53
	v_lshrrev_b32_e32 v115, 16, v54
	s_wait_dscnt 0x0
	v_lshrrev_b32_e32 v120, 16, v58
	v_lshrrev_b32_e32 v166, 16, v59
	v_mul_f16_e64 v171, v58, v121
	s_delay_alu instid0(VALU_DEP_3) | instskip(NEXT) | instid1(VALU_DEP_2)
	v_mul_f16_e32 v105, v120, v121
	v_fmac_f16_e64 v171, v120, v47
	v_lshrrev_b32_e32 v120, 16, v191
	s_delay_alu instid0(VALU_DEP_3) | instskip(SKIP_1) | instid1(VALU_DEP_3)
	v_fma_f16 v127, v58, v47, -v105
	v_lshrrev_b32_e32 v105, 16, v55
	v_fmac_f16_e64 v173, v120, v184
	v_mul_f16_e64 v176, v120, v6
	v_lshrrev_b32_e32 v120, 16, v52
	s_delay_alu instid0(VALU_DEP_4) | instskip(SKIP_1) | instid1(VALU_DEP_3)
	v_mul_f16_e64 v169, v166, v105
	v_mul_f16_e64 v207, v59, v105
	;; [unrolled: 1-line block ×3, first 2 shown]
	s_delay_alu instid0(VALU_DEP_3)
	v_fma_f16 v206, v59, v55, -v169
	ds_load_2addr_b32 v[58:59], v151 offset1:108
	ds_load_2addr_b32 v[169:170], v223 offset0:64 offset1:172
	v_fmac_f16_e64 v207, v166, v55
	v_fmac_f16_e64 v248, v244, v52
	v_add_f16_e64 v1, v205, v206
	v_mul_f16_e64 v244, v244, v120
	s_delay_alu instid0(VALU_DEP_1)
	v_fma_f16 v195, v195, v52, -v244
	s_wait_dscnt 0x1
	v_lshrrev_b32_e32 v208, 16, v59
	v_add_f16_e64 v5, v59, v205
	v_fmac_f16_e32 v59, -0.5, v1
	v_sub_f16_e64 v1, v134, v207
	s_wait_dscnt 0x0
	v_mul_f16_e64 v166, v169, v115
	v_sub_f16_e64 v205, v205, v206
	v_add_f16_e64 v148, v5, v206
	v_fma_f16 v209, 0x3aee, v1, v59
	v_fmac_f16_e32 v59, 0xbaee, v1
	v_lshrrev_b32_e32 v1, 16, v169
	s_delay_alu instid0(VALU_DEP_1) | instskip(SKIP_1) | instid1(VALU_DEP_1)
	v_fmac_f16_e64 v166, v1, v54
	v_mul_f16_e32 v1, v1, v115
	v_fma_f16 v1, v169, v54, -v1
	v_fma_f16 v169, v191, v184, -v176
	s_delay_alu instid0(VALU_DEP_2) | instskip(NEXT) | instid1(VALU_DEP_2)
	v_add_f16_e64 v191, v195, v1
	v_add_f16_e64 v176, v1, v169
	v_sub_f16_e64 v1, v1, v169
	s_delay_alu instid0(VALU_DEP_2) | instskip(SKIP_1) | instid1(VALU_DEP_1)
	v_fmac_f16_e64 v195, -0.5, v176
	v_sub_f16_e64 v176, v166, v173
	v_fma_f16 v244, 0x3aee, v176, v195
	v_fmac_f16_e64 v195, 0xbaee, v176
	v_add_f16_e64 v176, v166, v173
	v_add_f16_e64 v166, v248, v166
	s_delay_alu instid0(VALU_DEP_2) | instskip(SKIP_1) | instid1(VALU_DEP_3)
	v_fmac_f16_e64 v248, -0.5, v176
	v_add_f16_e64 v176, v63, v127
	v_add_f16_e64 v131, v166, v173
	s_delay_alu instid0(VALU_DEP_3) | instskip(SKIP_3) | instid1(VALU_DEP_2)
	v_fma_f16 v252, 0xbaee, v1, v248
	v_fmac_f16_e64 v248, 0x3aee, v1
	v_mul_f16_e64 v1, -0.5, v195
	v_fma_f16 v176, -0.5, v176, v58
	v_fmac_f16_e64 v1, 0x3aee, v248
	s_delay_alu instid0(VALU_DEP_1) | instskip(SKIP_4) | instid1(VALU_DEP_3)
	v_add_f16_e64 v214, v59, v1
	v_sub_f16_e64 v217, v59, v1
	v_lshrrev_b32_e32 v1, 16, v58
	v_add_f16_e64 v59, v62, v171
	v_add_f16_e32 v58, v58, v63
	v_add_f16_e64 v222, v1, v62
	s_delay_alu instid0(VALU_DEP_3) | instskip(SKIP_1) | instid1(VALU_DEP_4)
	v_fmac_f16_e32 v1, -0.5, v59
	v_sub_f16_e32 v59, v63, v127
	v_add_f16_e32 v58, v58, v127
	v_sub_f16_e64 v62, v62, v171
	s_delay_alu instid0(VALU_DEP_3) | instskip(SKIP_2) | instid1(VALU_DEP_4)
	v_fmamk_f16 v127, v59, 0xbaee, v1
	v_fmac_f16_e32 v1, 0x3aee, v59
	v_add_f16_e32 v59, v3, v60
	v_fma_f16 v63, 0x3aee, v62, v176
	v_fmac_f16_e64 v176, 0xbaee, v62
	v_add_f16_e64 v62, v222, v171
	v_add_f16_e64 v171, v2, v3
	v_fmac_f16_e32 v2, -0.5, v59
	v_add_f16_e32 v59, v4, v61
	v_add_f16_e64 v222, v0, v4
	v_sub_f16_e32 v3, v3, v60
	v_sub_f16_e32 v4, v4, v61
	s_delay_alu instid0(VALU_DEP_4) | instskip(SKIP_1) | instid1(VALU_DEP_3)
	v_fmac_f16_e32 v0, -0.5, v59
	v_add_f16_e64 v59, v171, v60
	v_fmamk_f16 v60, v4, 0x3aee, v2
	v_fmac_f16_e32 v2, 0xbaee, v4
	v_add_f16_e64 v4, v222, v61
	v_fmamk_f16 v61, v3, 0xbaee, v0
	v_fmac_f16_e32 v0, 0x3aee, v3
	v_add_f16_e64 v222, v191, v169
	s_delay_alu instid0(VALU_DEP_4) | instskip(NEXT) | instid1(VALU_DEP_4)
	v_add_f16_e64 v171, v62, v4
	v_mul_f16_e32 v3, 0x3aee, v61
	v_sub_f16_e32 v4, v62, v4
	s_delay_alu instid0(VALU_DEP_2) | instskip(SKIP_1) | instid1(VALU_DEP_1)
	v_fmac_f16_e32 v3, 0.5, v60
	v_mul_f16_e32 v60, 0xbaee, v60
	v_fmac_f16_e32 v60, 0.5, v61
	v_mul_f16_e32 v61, -0.5, v2
	s_delay_alu instid0(VALU_DEP_2) | instskip(NEXT) | instid1(VALU_DEP_2)
	v_add_f16_e32 v62, v127, v60
	v_fmac_f16_e32 v61, 0x3aee, v0
	v_mul_f16_e32 v0, -0.5, v0
	v_sub_f16_e32 v60, v127, v60
	s_delay_alu instid0(VALU_DEP_2)
	v_fmac_f16_e32 v0, 0xbaee, v2
	v_add_f16_e32 v2, v58, v59
	v_sub_f16_e32 v58, v58, v59
	v_add_f16_e32 v59, v63, v3
	v_sub_f16_e32 v3, v63, v3
	v_add_f16_e64 v63, v176, v61
	v_sub_f16_e64 v61, v176, v61
	v_add_f16_e32 v127, v1, v0
	v_sub_f16_e32 v0, v1, v0
	v_pack_b32_f16 v166, v2, v171
	v_pack_b32_f16 v1, v59, v62
	;; [unrolled: 1-line block ×5, first 2 shown]
	v_add_f16_e64 v0, v208, v134
	v_pack_b32_f16 v60, v3, v60
	ds_store_b32 v151, v1 offset:2160
	v_lshrrev_b32_e32 v171, 16, v196
	v_lshrrev_b32_e32 v176, 16, v170
	v_add_f16_e64 v230, v0, v207
	v_add_f16_e64 v0, v148, v222
	;; [unrolled: 1-line block ×3, first 2 shown]
	s_delay_alu instid0(VALU_DEP_3) | instskip(NEXT) | instid1(VALU_DEP_2)
	v_add_f16_e64 v2, v230, v131
	v_fmac_f16_e64 v208, -0.5, v207
	s_delay_alu instid0(VALU_DEP_2)
	v_pack_b32_f16 v62, v0, v2
	ds_load_2addr_b32 v[0:1], v113 offset0:88 offset1:196
	ds_load_2addr_b32 v[2:3], v111 offset0:16 offset1:124
	;; [unrolled: 1-line block ×3, first 2 shown]
	ds_store_b32 v151, v59 offset:4320
	ds_store_b32 v151, v58 offset:6480
	;; [unrolled: 1-line block ×4, first 2 shown]
	ds_store_2addr_b32 v151, v166, v62 offset1:108
	s_clause 0x1
	global_load_b32 v191, v[56:57], off offset:6484
	global_load_b128 v[60:63], v[56:57], off offset:6468
	s_wait_dscnt 0x7
	v_lshrrev_b32_e32 v206, 16, v1
	s_wait_dscnt 0x6
	v_lshrrev_b32_e32 v16, 16, v3
	s_wait_loadcnt 0x1
	v_lshrrev_b32_e32 v6, 16, v191
	s_wait_loadcnt 0x0
	v_lshrrev_b32_e32 v173, 16, v60
	v_lshrrev_b32_e32 v127, 16, v62
	;; [unrolled: 1-line block ×3, first 2 shown]
	v_mul_f16_e64 v9, v192, v6
	s_delay_alu instid0(VALU_DEP_4) | instskip(NEXT) | instid1(VALU_DEP_4)
	v_mul_f16_e64 v58, v171, v173
	v_mul_f16_e64 v8, v170, v127
	s_wait_dscnt 0x5
	v_mul_f16_e32 v7, v4, v88
	s_delay_alu instid0(VALU_DEP_3) | instskip(SKIP_4) | instid1(VALU_DEP_4)
	v_fma_f16 v149, v196, v60, -v58
	v_mul_f16_e64 v58, v176, v127
	v_fmac_f16_e64 v8, v176, v62
	v_lshrrev_b32_e32 v176, 16, v61
	v_mul_f16_e64 v196, v196, v173
	v_fma_f16 v13, v170, v62, -v58
	v_lshrrev_b32_e32 v170, 16, v192
	s_delay_alu instid0(VALU_DEP_3) | instskip(NEXT) | instid1(VALU_DEP_2)
	v_fmac_f16_e64 v196, v171, v60
	v_mul_f16_e64 v58, v170, v6
	v_mul_f16_e64 v6, v2, v176
	v_fmac_f16_e64 v9, v170, v191
	s_delay_alu instid0(VALU_DEP_3)
	v_fma_f16 v17, v192, v191, -v58
	s_clause 0x1
	global_load_b32 v192, v[56:57], off offset:8644
	global_load_b128 v[56:59], v[56:57], off offset:8628
	s_wait_loadcnt 0x0
	v_lshrrev_b32_e32 v169, 16, v56
	v_lshrrev_b32_e32 v171, 16, v57
	;; [unrolled: 1-line block ×3, first 2 shown]
	s_delay_alu instid0(VALU_DEP_3) | instskip(NEXT) | instid1(VALU_DEP_3)
	v_mul_f16_e64 v181, v15, v169
	v_mul_f16_e64 v10, v3, v171
	s_delay_alu instid0(VALU_DEP_2) | instskip(SKIP_1) | instid1(VALU_DEP_3)
	v_fma_f16 v181, v128, v56, -v181
	v_mul_f16_e64 v128, v128, v169
	v_fmac_f16_e32 v10, v16, v57
	s_delay_alu instid0(VALU_DEP_2) | instskip(SKIP_1) | instid1(VALU_DEP_1)
	v_fmac_f16_e64 v128, v15, v56
	v_lshrrev_b32_e32 v15, 16, v2
	v_fmac_f16_e32 v6, v15, v61
	v_mul_f16_e64 v15, v15, v176
	s_delay_alu instid0(VALU_DEP_1) | instskip(SKIP_3) | instid1(VALU_DEP_4)
	v_fma_f16 v12, v2, v61, -v15
	v_mul_f16_e64 v15, v16, v171
	v_mul_f16_e64 v2, v172, v170
	;; [unrolled: 1-line block ×3, first 2 shown]
	v_add_f16_e32 v20, v0, v12
	s_delay_alu instid0(VALU_DEP_4) | instskip(SKIP_1) | instid1(VALU_DEP_4)
	v_fma_f16 v18, v3, v57, -v15
	v_mul_f16_e64 v15, v14, v170
	v_fmac_f16_e64 v16, 0.5, v252
	v_fmac_f16_e32 v2, v14, v58
	v_mul_f16_e64 v14, 0x3aee, v252
	v_add_f16_e64 v207, v1, v18
	v_fma_f16 v3, v172, v58, -v15
	v_lshrrev_b32_e32 v172, 16, v4
	v_lshrrev_b32_e32 v15, 16, v192
	v_fmac_f16_e64 v14, 0.5, v244
	v_add_f16_e64 v24, v128, v2
	v_add_f16_e64 v244, v181, v3
	v_mul_f16_e64 v23, v172, v88
	v_fmac_f16_e64 v7, v172, v63
	v_lshrrev_b32_e32 v172, 16, v59
	v_sub_f16_e64 v22, v209, v14
	s_delay_alu instid0(VALU_DEP_4) | instskip(SKIP_2) | instid1(VALU_DEP_3)
	v_fma_f16 v11, v4, v63, -v23
	v_lshrrev_b32_e32 v4, 16, v19
	v_lshrrev_b32_e32 v23, 16, v5
	v_add_f16_e64 v252, v12, v11
	s_delay_alu instid0(VALU_DEP_3) | instskip(NEXT) | instid1(VALU_DEP_3)
	v_mul_f16_e64 v134, v4, v15
	v_mul_f16_e64 v166, v23, v172
	v_sub_f16_e32 v12, v12, v11
	v_add_f16_e32 v11, v20, v11
	v_fma_f16 v252, -0.5, v252, v0
	v_fma_f16 v134, v19, v192, -v134
	v_mul_f16_e32 v19, v19, v15
	v_fma_f16 v166, v5, v59, -v166
	v_mul_f16_e64 v5, v5, v172
	s_delay_alu instid0(VALU_DEP_3) | instskip(SKIP_1) | instid1(VALU_DEP_3)
	v_fmac_f16_e64 v19, v4, v192
	v_fma_f16 v4, 0xbaee, v205, v208
	v_fmac_f16_e32 v5, v23, v59
	v_fmac_f16_e64 v208, 0x3aee, v205
	v_mul_f16_e64 v23, -0.5, v248
	s_delay_alu instid0(VALU_DEP_4) | instskip(SKIP_2) | instid1(VALU_DEP_4)
	v_add_f16_e64 v205, v4, v16
	v_sub_f16_e32 v21, v4, v16
	v_add_f16_e64 v16, v18, v166
	v_fmac_f16_e64 v23, 0xbaee, v195
	v_add_f16_e64 v195, v209, v14
	v_add_f16_e64 v14, v149, v13
	;; [unrolled: 1-line block ×3, first 2 shown]
	v_fmac_f16_e32 v1, -0.5, v16
	v_sub_f16_e32 v16, v10, v5
	v_pack_b32_f16 v21, v22, v21
	v_add_f16_e64 v30, v208, v23
	v_add_f16_e32 v14, v14, v17
	v_add_f16_e32 v4, v4, v9
	v_fma_f16 v209, 0x3aee, v16, v1
	v_fmac_f16_e32 v1, 0xbaee, v16
	v_add_f16_e64 v16, v3, v134
	v_sub_f16_e64 v3, v3, v134
	v_pack_b32_f16 v30, v214, v30
	s_delay_alu instid0(VALU_DEP_3) | instskip(SKIP_1) | instid1(VALU_DEP_1)
	v_fmac_f16_e64 v181, -0.5, v16
	v_sub_f16_e32 v16, v2, v19
	v_fma_f16 v248, 0x3aee, v16, v181
	v_fmac_f16_e64 v181, 0xbaee, v16
	v_add_f16_e32 v16, v2, v19
	v_sub_f16_e32 v2, v13, v17
	s_delay_alu instid0(VALU_DEP_2) | instskip(NEXT) | instid1(VALU_DEP_1)
	v_fmac_f16_e64 v128, -0.5, v16
	v_fma_f16 v16, 0xbaee, v3, v128
	v_fmac_f16_e64 v128, 0x3aee, v3
	v_mul_f16_e64 v3, -0.5, v181
	s_delay_alu instid0(VALU_DEP_1) | instskip(NEXT) | instid1(VALU_DEP_1)
	v_fmac_f16_e64 v3, 0x3aee, v128
	v_add_f16_e32 v25, v1, v3
	v_sub_f16_e32 v27, v1, v3
	v_lshrrev_b32_e32 v3, 16, v0
	v_add_f16_e32 v0, v6, v7
	s_delay_alu instid0(VALU_DEP_2) | instskip(NEXT) | instid1(VALU_DEP_2)
	v_add_f16_e32 v15, v3, v6
	v_fmac_f16_e32 v3, -0.5, v0
	v_add_f16_e32 v0, v13, v17
	v_sub_f16_e32 v6, v6, v7
	s_delay_alu instid0(VALU_DEP_4) | instskip(NEXT) | instid1(VALU_DEP_4)
	v_add_f16_e32 v7, v15, v7
	v_fmamk_f16 v31, v12, 0xbaee, v3
	s_delay_alu instid0(VALU_DEP_4)
	v_fmac_f16_e64 v149, -0.5, v0
	v_add_f16_e32 v0, v8, v9
	v_sub_f16_e32 v8, v8, v9
	v_fma_f16 v22, 0x3aee, v6, v252
	v_sub_f16_e32 v15, v7, v4
	v_fmac_f16_e64 v252, 0xbaee, v6
	v_fmac_f16_e64 v196, -0.5, v0
	v_fma_f16 v0, 0x3aee, v8, v149
	v_fmac_f16_e64 v149, 0xbaee, v8
	v_fmac_f16_e32 v3, 0x3aee, v12
	v_sub_f16_e64 v8, v208, v23
	v_fma_f16 v13, 0xbaee, v2, v196
	v_fmac_f16_e64 v196, 0x3aee, v2
	v_mul_f16_e64 v2, -0.5, v149
	v_add_f16_e32 v4, v7, v4
	v_pack_b32_f16 v8, v217, v8
	v_mul_f16_e32 v1, 0x3aee, v13
	v_mul_f16_e64 v6, -0.5, v196
	v_fmac_f16_e64 v2, 0x3aee, v196
	v_add_f16_e64 v7, v244, v134
	v_mov_b32_e32 v134, v89
	v_fmac_f16_e32 v1, 0.5, v0
	v_mul_f16_e32 v0, 0xbaee, v0
	v_fmac_f16_e64 v6, 0xbaee, v149
	v_mov_b32_e32 v149, v112
	s_delay_alu instid0(VALU_DEP_3)
	v_fmac_f16_e32 v0, 0.5, v13
	v_pack_b32_f16 v13, v195, v205
	v_add_f16_e64 v195, v22, v1
	v_sub_f16_e32 v12, v3, v6
	v_add_f16_e32 v3, v3, v6
	v_add_f16_e64 v205, v31, v0
	v_mul_f16_e32 v6, 0x3aee, v16
	v_sub_f16_e32 v1, v22, v1
	v_sub_f16_e32 v0, v31, v0
	s_delay_alu instid0(VALU_DEP_4)
	v_pack_b32_f16 v195, v195, v205
	ds_store_b32 v151, v30 offset:4752
	ds_store_b32 v151, v21 offset:9072
	ds_store_2addr_b32 v114, v13, v195 offset0:136 offset1:244
	v_sub_f16_e64 v13, v148, v222
	v_sub_f16_e64 v21, v230, v131
	v_fmac_f16_e64 v6, 0.5, v248
	v_pack_b32_f16 v0, v1, v0
	v_mov_b32_e32 v148, v93
	s_delay_alu instid0(VALU_DEP_4) | instskip(SKIP_1) | instid1(VALU_DEP_1)
	v_pack_b32_f16 v9, v13, v21
	v_sub_f16_e32 v13, v11, v14
	v_pack_b32_f16 v13, v13, v15
	ds_store_2addr_b32 v223, v9, v13 offset0:64 offset1:172
	v_sub_f16_e64 v9, v252, v2
	v_add_f16_e64 v2, v252, v2
	s_delay_alu instid0(VALU_DEP_2) | instskip(NEXT) | instid1(VALU_DEP_2)
	v_pack_b32_f16 v9, v9, v12
	v_pack_b32_f16 v2, v2, v3
	ds_store_2addr_b32 v93, v8, v9 offset0:120 offset1:228
	v_add_f16_e32 v8, v11, v14
	v_add_f16_e64 v11, v206, v10
	v_add_f16_e32 v9, v24, v19
	s_delay_alu instid0(VALU_DEP_3) | instskip(SKIP_1) | instid1(VALU_DEP_4)
	v_pack_b32_f16 v4, v8, v4
	v_add_f16_e64 v8, v207, v166
	v_add_f16_e32 v11, v11, v5
	s_delay_alu instid0(VALU_DEP_2) | instskip(NEXT) | instid1(VALU_DEP_2)
	v_add_f16_e32 v12, v8, v7
	v_add_f16_e32 v13, v11, v9
	s_delay_alu instid0(VALU_DEP_1) | instskip(SKIP_3) | instid1(VALU_DEP_2)
	v_pack_b32_f16 v12, v12, v13
	ds_store_2addr_b32 v113, v4, v12 offset0:88 offset1:196
	v_add_f16_e32 v4, v10, v5
	v_add_f16_e64 v10, v177, v133
	v_fmac_f16_e64 v206, -0.5, v4
	v_sub_f16_e64 v4, v18, v166
	s_delay_alu instid0(VALU_DEP_3) | instskip(NEXT) | instid1(VALU_DEP_2)
	v_add_f16_e64 v10, v10, v187
	v_fma_f16 v5, 0xbaee, v4, v206
	v_fmac_f16_e64 v206, 0x3aee, v4
	v_mul_f16_e64 v4, -0.5, v128
	s_delay_alu instid0(VALU_DEP_1) | instskip(NEXT) | instid1(VALU_DEP_1)
	v_fmac_f16_e64 v4, 0xbaee, v181
	v_add_f16_e64 v3, v206, v4
	v_sub_f16_e64 v4, v206, v4
	s_delay_alu instid0(VALU_DEP_2)
	v_pack_b32_f16 v3, v25, v3
	ds_store_2addr_b32 v111, v2, v3 offset0:16 offset1:124
	v_sub_f16_e32 v2, v8, v7
	v_mul_f16_e64 v7, 0xbaee, v248
	v_sub_f16_e32 v3, v11, v9
	v_add_f16_e64 v8, v85, v194
	v_add_f16_e64 v9, v193, v186
	s_delay_alu instid0(VALU_DEP_4) | instskip(NEXT) | instid1(VALU_DEP_4)
	v_fmac_f16_e32 v7, 0.5, v16
	v_pack_b32_f16 v1, v2, v3
	v_sub_f16_e64 v2, v209, v6
	v_add_f16_e32 v12, v10, v8
	s_delay_alu instid0(VALU_DEP_4) | instskip(NEXT) | instid1(VALU_DEP_1)
	v_sub_f16_e32 v3, v5, v7
	v_pack_b32_f16 v2, v2, v3
	ds_store_b32 v151, v1 offset:7776
	ds_store_2addr_b32 v147, v0, v2 offset0:72 offset1:180
	v_add_f16_e64 v0, v133, v187
	v_add_f16_e32 v3, v86, v26
	v_add_f16_e64 v1, v209, v6
	v_add_f16_e32 v2, v5, v7
	v_mul_f16_e32 v5, 0x3aee, v28
	v_fmac_f16_e64 v177, -0.5, v0
	v_sub_f16_e64 v0, v185, v186
	v_mul_f16_e64 v6, 0xbaee, v129
	v_add_f16_e32 v11, v9, v3
	v_fmac_f16_e64 v5, 0.5, v129
	v_pack_b32_f16 v1, v1, v2
	v_pack_b32_f16 v2, v27, v4
	v_fmac_f16_e32 v6, 0.5, v28
	v_fma_f16 v4, 0xbaee, v0, v177
	v_fmac_f16_e64 v177, 0x3aee, v0
	v_mul_f16_e64 v0, -0.5, v188
	v_pack_b32_f16 v11, v11, v12
	v_add_f16_e64 v7, v180, v5
	v_add_f16_e32 v12, v4, v6
	v_sub_f16_e32 v4, v4, v6
	v_fmac_f16_e64 v0, 0xbaee, v189
	s_delay_alu instid0(VALU_DEP_3)
	v_pack_b32_f16 v7, v7, v12
	ds_store_b32 v151, v2 offset:12096
	ds_store_b32 v151, v11 offset:1728
	ds_store_2addr_b32 v89, v1, v7 offset0:96 offset1:204
	v_sub_f16_e64 v2, v180, v5
	v_add_f16_e64 v5, v177, v0
	v_sub_f16_e32 v1, v9, v3
	v_sub_f16_e32 v3, v10, v8
	v_sub_f16_e64 v0, v177, v0
	v_pack_b32_f16 v2, v2, v4
	v_pack_b32_f16 v5, v64, v5
	s_delay_alu instid0(VALU_DEP_4) | instskip(NEXT) | instid1(VALU_DEP_4)
	v_pack_b32_f16 v1, v1, v3
	v_pack_b32_f16 v0, v145, v0
	ds_store_b32 v151, v5 offset:6048
	ds_store_b32 v151, v1 offset:8208
	;; [unrolled: 1-line block ×4, first 2 shown]
	global_wb scope:SCOPE_SE
	s_wait_dscnt 0x0
	s_barrier_signal -1
	s_barrier_wait -1
	global_inv scope:SCOPE_SE
	s_clause 0x1
	global_load_b32 v0, v151, s[4:5] offset:12960
	global_load_b32 v12, v151, s[2:3] offset:12528
	ds_load_2addr_b32 v[10:11], v151 offset1:108
	v_mov_b32_e32 v145, v136
	s_wait_dscnt 0x0
	v_lshrrev_b32_e32 v2, 16, v10
	s_wait_loadcnt 0x1
	v_lshrrev_b32_e32 v1, 16, v0
	s_delay_alu instid0(VALU_DEP_1) | instskip(NEXT) | instid1(VALU_DEP_3)
	v_mul_f16_e32 v3, v10, v1
	v_mul_f16_e32 v1, v2, v1
	s_delay_alu instid0(VALU_DEP_2) | instskip(NEXT) | instid1(VALU_DEP_2)
	v_fmac_f16_e32 v3, v2, v0
	v_fma_f16 v0, v10, v0, -v1
	s_delay_alu instid0(VALU_DEP_1)
	v_pack_b32_f16 v0, v0, v3
	ds_store_b32 v151, v0
	s_clause 0x5
	global_load_b32 v0, v151, s[2:3] offset:4752
	global_load_b32 v1, v151, s[2:3] offset:5184
	;; [unrolled: 1-line block ×6, first 2 shown]
	ds_load_2addr_b32 v[8:9], v160 offset0:56 offset1:164
	s_wait_dscnt 0x0
	v_lshrrev_b32_e32 v4, 16, v9
	s_wait_loadcnt 0x5
	v_lshrrev_b32_e32 v3, 16, v0
	s_wait_loadcnt 0x4
	v_lshrrev_b32_e32 v6, 16, v1
	s_delay_alu instid0(VALU_DEP_2) | instskip(SKIP_1) | instid1(VALU_DEP_2)
	v_mul_f16_e32 v5, v9, v3
	v_mul_f16_e32 v3, v4, v3
	v_fmac_f16_e32 v5, v4, v0
	s_delay_alu instid0(VALU_DEP_2)
	v_fma_f16 v0, v9, v0, -v3
	ds_load_2addr_b32 v[3:4], v111 offset0:16 offset1:124
	v_pack_b32_f16 v0, v0, v5
	s_wait_dscnt 0x0
	v_lshrrev_b32_e32 v7, 16, v3
	v_mul_f16_e32 v9, v3, v6
	s_delay_alu instid0(VALU_DEP_2) | instskip(NEXT) | instid1(VALU_DEP_2)
	v_mul_f16_e32 v6, v7, v6
	v_fmac_f16_e32 v9, v7, v1
	s_delay_alu instid0(VALU_DEP_2) | instskip(SKIP_1) | instid1(VALU_DEP_2)
	v_fma_f16 v1, v3, v1, -v6
	v_add_nc_u32_e32 v3, 0x1200, v151
	v_pack_b32_f16 v1, v1, v9
	ds_store_2addr_b32 v3, v0, v1 offset0:36 offset1:144
	s_clause 0x4
	global_load_b32 v0, v151, s[2:3] offset:9072
	global_load_b32 v1, v151, s[2:3] offset:9504
	;; [unrolled: 1-line block ×5, first 2 shown]
	ds_load_2addr_b32 v[5:6], v159 offset0:112 offset1:220
	s_wait_dscnt 0x0
	v_lshrrev_b32_e32 v10, 16, v6
	s_wait_loadcnt 0x4
	v_lshrrev_b32_e32 v7, 16, v0
	s_delay_alu instid0(VALU_DEP_1) | instskip(NEXT) | instid1(VALU_DEP_3)
	v_mul_f16_e32 v17, v6, v7
	v_mul_f16_e32 v7, v10, v7
	s_delay_alu instid0(VALU_DEP_2) | instskip(NEXT) | instid1(VALU_DEP_2)
	v_fmac_f16_e32 v17, v10, v0
	v_fma_f16 v0, v6, v0, -v7
	ds_load_2addr_b32 v[6:7], v147 offset0:72 offset1:180
	s_wait_loadcnt 0x3
	v_lshrrev_b32_e32 v10, 16, v1
	v_pack_b32_f16 v0, v0, v17
	s_wait_dscnt 0x0
	v_lshrrev_b32_e32 v18, 16, v6
	s_delay_alu instid0(VALU_DEP_3) | instskip(NEXT) | instid1(VALU_DEP_2)
	v_mul_f16_e32 v19, v6, v10
	v_mul_f16_e32 v10, v18, v10
	s_delay_alu instid0(VALU_DEP_2) | instskip(NEXT) | instid1(VALU_DEP_2)
	v_fmac_f16_e32 v19, v18, v1
	v_fma_f16 v1, v6, v1, -v10
	v_add_nc_u32_e32 v6, 0x2200, v151
	s_delay_alu instid0(VALU_DEP_2)
	v_pack_b32_f16 v1, v1, v19
	ds_store_2addr_b32 v6, v0, v1 offset0:92 offset1:200
	s_clause 0x5
	global_load_b32 v0, v151, s[2:3] offset:1296
	global_load_b32 v1, v151, s[2:3] offset:1728
	;; [unrolled: 1-line block ×6, first 2 shown]
	ds_load_2addr_b32 v[185:186], v113 offset0:88 offset1:196
	ds_load_2addr_b32 v[188:189], v112 offset0:104 offset1:212
	;; [unrolled: 1-line block ×4, first 2 shown]
	s_wait_dscnt 0x3
	v_lshrrev_b32_e32 v20, 16, v186
	s_wait_loadcnt 0x5
	v_lshrrev_b32_e32 v6, 16, v0
	s_delay_alu instid0(VALU_DEP_1) | instskip(NEXT) | instid1(VALU_DEP_3)
	v_mul_f16_e64 v21, v186, v6
	v_mul_f16_e32 v6, v20, v6
	s_delay_alu instid0(VALU_DEP_2) | instskip(NEXT) | instid1(VALU_DEP_2)
	v_fmac_f16_e32 v21, v20, v0
	v_fma_f16 v0, v186, v0, -v6
	ds_load_2addr_b32 v[186:187], v197 offset0:48 offset1:156
	s_wait_loadcnt 0x4
	v_lshrrev_b32_e32 v6, 16, v1
	v_pack_b32_f16 v0, v0, v21
	s_wait_dscnt 0x0
	v_lshrrev_b32_e32 v20, 16, v186
	s_delay_alu instid0(VALU_DEP_3) | instskip(NEXT) | instid1(VALU_DEP_2)
	v_mul_f16_e64 v22, v186, v6
	v_mul_f16_e32 v6, v20, v6
	s_delay_alu instid0(VALU_DEP_2) | instskip(NEXT) | instid1(VALU_DEP_2)
	v_fmac_f16_e32 v22, v20, v1
	v_fma_f16 v1, v186, v1, -v6
	v_add_nc_u32_e32 v6, 0x400, v151
	s_delay_alu instid0(VALU_DEP_2) | instskip(SKIP_3) | instid1(VALU_DEP_1)
	v_pack_b32_f16 v1, v1, v22
	ds_store_2addr_b32 v6, v0, v1 offset0:68 offset1:176
	v_lshrrev_b32_e32 v0, 16, v7
	v_lshrrev_b32_e32 v1, 16, v3
	v_mul_f16_e32 v6, v0, v1
	v_mul_f16_e32 v1, v7, v1
	s_delay_alu instid0(VALU_DEP_2) | instskip(SKIP_3) | instid1(VALU_DEP_2)
	v_fma_f16 v20, v7, v3, -v6
	ds_load_2addr_b32 v[6:7], v190 offset0:32 offset1:140
	v_fmac_f16_e32 v1, v0, v3
	v_lshrrev_b32_e32 v0, 16, v9
	v_pack_b32_f16 v1, v20, v1
	s_wait_dscnt 0x0
	v_lshrrev_b32_e32 v3, 16, v6
	s_delay_alu instid0(VALU_DEP_3) | instskip(NEXT) | instid1(VALU_DEP_2)
	v_mul_f16_e32 v21, v6, v0
	v_mul_f16_e32 v0, v3, v0
	s_delay_alu instid0(VALU_DEP_2) | instskip(SKIP_1) | instid1(VALU_DEP_3)
	v_fmac_f16_e32 v21, v3, v9
	v_add_nc_u32_e32 v3, 0x2600, v151
	v_fma_f16 v0, v6, v9, -v0
	s_delay_alu instid0(VALU_DEP_1)
	v_pack_b32_f16 v0, v0, v21
	ds_store_2addr_b32 v3, v1, v0 offset0:52 offset1:160
	global_load_b32 v0, v151, s[2:3] offset:6480
	v_lshrrev_b32_e32 v3, 16, v189
	s_wait_loadcnt 0x0
	v_lshrrev_b32_e32 v1, 16, v0
	s_delay_alu instid0(VALU_DEP_1) | instskip(NEXT) | instid1(VALU_DEP_3)
	v_mul_f16_e64 v6, v189, v1
	v_mul_f16_e32 v1, v3, v1
	s_delay_alu instid0(VALU_DEP_2) | instskip(NEXT) | instid1(VALU_DEP_2)
	v_fmac_f16_e32 v6, v3, v0
	v_fma_f16 v0, v189, v0, -v1
	v_lshrrev_b32_e32 v1, 16, v2
	v_lshrrev_b32_e32 v3, 16, v193
	s_delay_alu instid0(VALU_DEP_3) | instskip(NEXT) | instid1(VALU_DEP_3)
	v_pack_b32_f16 v0, v0, v6
	v_mul_f16_e64 v9, v193, v1
	s_delay_alu instid0(VALU_DEP_3) | instskip(SKIP_1) | instid1(VALU_DEP_3)
	v_mul_f16_e32 v1, v3, v1
	v_lshrrev_b32_e32 v6, 16, v10
	v_fmac_f16_e32 v9, v3, v2
	s_delay_alu instid0(VALU_DEP_3) | instskip(SKIP_1) | instid1(VALU_DEP_2)
	v_fma_f16 v1, v193, v2, -v1
	v_add_nc_u32_e32 v2, 0x1800, v151
	v_pack_b32_f16 v1, v1, v9
	ds_store_2addr_b32 v2, v0, v1 offset0:84 offset1:192
	global_load_b32 v0, v151, s[2:3] offset:3024
	v_lshrrev_b32_e32 v2, 16, v196
	s_wait_loadcnt 0x0
	v_lshrrev_b32_e32 v1, 16, v0
	s_delay_alu instid0(VALU_DEP_1) | instskip(NEXT) | instid1(VALU_DEP_3)
	v_mul_f16_e64 v3, v196, v1
	v_mul_f16_e32 v1, v2, v1
	s_delay_alu instid0(VALU_DEP_2) | instskip(NEXT) | instid1(VALU_DEP_2)
	v_fmac_f16_e32 v3, v2, v0
	v_fma_f16 v2, v196, v0, -v1
	ds_load_2addr_b32 v[0:1], v89 offset0:96 offset1:204
	v_pack_b32_f16 v2, v2, v3
	v_add_nc_u32_e32 v3, 0xa00, v151
	s_wait_dscnt 0x0
	v_lshrrev_b32_e32 v9, 16, v0
	v_mul_f16_e32 v20, v0, v6
	s_delay_alu instid0(VALU_DEP_2) | instskip(NEXT) | instid1(VALU_DEP_2)
	v_mul_f16_e32 v6, v9, v6
	v_fmac_f16_e32 v20, v9, v10
	s_delay_alu instid0(VALU_DEP_2) | instskip(NEXT) | instid1(VALU_DEP_1)
	v_fma_f16 v0, v0, v10, -v6
	v_pack_b32_f16 v0, v0, v20
	ds_store_2addr_b32 v3, v2, v0 offset0:116 offset1:224
	s_clause 0x1
	global_load_b32 v0, v151, s[2:3] offset:7344
	global_load_b32 v2, v151, s[2:3] offset:7776
	v_lshrrev_b32_e32 v3, 16, v194
	global_load_b32 v6, v151, s[2:3] offset:8208
	s_wait_loadcnt 0x2
	v_lshrrev_b32_e32 v9, 16, v0
	s_delay_alu instid0(VALU_DEP_1) | instskip(SKIP_1) | instid1(VALU_DEP_2)
	v_mul_f16_e32 v10, v3, v9
	v_mul_f16_e64 v9, v194, v9
	v_fma_f16 v10, v194, v0, -v10
	ds_load_2addr_b32 v[193:194], v136 offset0:24 offset1:132
	v_fmac_f16_e32 v9, v3, v0
	s_wait_loadcnt 0x1
	v_lshrrev_b32_e32 v0, 16, v2
	s_wait_dscnt 0x0
	v_lshrrev_b32_e32 v3, 16, v193
	s_delay_alu instid0(VALU_DEP_2) | instskip(NEXT) | instid1(VALU_DEP_2)
	v_mul_f16_e64 v20, v193, v0
	v_mul_f16_e32 v0, v3, v0
	s_delay_alu instid0(VALU_DEP_2) | instskip(SKIP_1) | instid1(VALU_DEP_3)
	v_fmac_f16_e32 v20, v3, v2
	v_add_nc_u32_e32 v3, 0x1c00, v151
	v_fma_f16 v0, v193, v2, -v0
	v_pack_b32_f16 v2, v10, v9
	s_delay_alu instid0(VALU_DEP_2)
	v_pack_b32_f16 v0, v0, v20
	ds_store_2addr_b32 v3, v2, v0 offset0:44 offset1:152
	s_clause 0x2
	global_load_b32 v0, v151, s[2:3] offset:11664
	global_load_b32 v20, v151, s[2:3] offset:12096
	;; [unrolled: 1-line block ×3, first 2 shown]
	ds_load_2addr_b32 v[2:3], v93 offset0:120 offset1:228
	s_wait_dscnt 0x0
	v_lshrrev_b32_e32 v10, 16, v3
	s_wait_loadcnt 0x2
	v_lshrrev_b32_e32 v9, 16, v0
	s_delay_alu instid0(VALU_DEP_1) | instskip(NEXT) | instid1(VALU_DEP_3)
	v_mul_f16_e32 v22, v3, v9
	v_mul_f16_e32 v9, v10, v9
	s_delay_alu instid0(VALU_DEP_2) | instskip(NEXT) | instid1(VALU_DEP_2)
	v_fmac_f16_e32 v22, v10, v0
	v_fma_f16 v0, v3, v0, -v9
	ds_load_2addr_b32 v[9:10], v174 offset0:80 offset1:188
	s_wait_loadcnt 0x1
	v_lshrrev_b32_e32 v3, 16, v20
	v_pack_b32_f16 v0, v0, v22
	s_wait_dscnt 0x0
	v_lshrrev_b32_e32 v23, 16, v9
	s_delay_alu instid0(VALU_DEP_3) | instskip(NEXT) | instid1(VALU_DEP_2)
	v_mul_f16_e32 v24, v9, v3
	v_mul_f16_e32 v3, v23, v3
	s_delay_alu instid0(VALU_DEP_2) | instskip(NEXT) | instid1(VALU_DEP_2)
	v_fmac_f16_e32 v24, v23, v20
	v_fma_f16 v3, v9, v20, -v3
	v_add_nc_u32_e32 v9, 0x2c00, v151
	s_delay_alu instid0(VALU_DEP_2) | instskip(SKIP_4) | instid1(VALU_DEP_1)
	v_pack_b32_f16 v3, v3, v24
	ds_store_2addr_b32 v9, v0, v3 offset0:100 offset1:208
	global_load_b32 v0, v151, s[2:3] offset:3888
	v_lshrrev_b32_e32 v3, 16, v8
	v_lshrrev_b32_e32 v9, 16, v15
	v_mul_f16_e32 v20, v3, v9
	v_mul_f16_e32 v9, v8, v9
	s_delay_alu instid0(VALU_DEP_2) | instskip(NEXT) | instid1(VALU_DEP_2)
	v_fma_f16 v8, v8, v15, -v20
	v_fmac_f16_e32 v9, v3, v15
	v_lshrrev_b32_e32 v3, 16, v1
	s_wait_loadcnt 0x0
	v_lshrrev_b32_e32 v15, 16, v0
	s_delay_alu instid0(VALU_DEP_1) | instskip(SKIP_1) | instid1(VALU_DEP_2)
	v_mul_f16_e32 v20, v3, v15
	v_mul_f16_e32 v15, v1, v15
	v_fma_f16 v1, v1, v0, -v20
	s_delay_alu instid0(VALU_DEP_2) | instskip(SKIP_2) | instid1(VALU_DEP_3)
	v_fmac_f16_e32 v15, v3, v0
	v_pack_b32_f16 v0, v8, v9
	v_add_nc_u32_e32 v3, 0xe00, v151
	v_pack_b32_f16 v1, v1, v15
	v_lshrrev_b32_e32 v15, 16, v13
	ds_store_2addr_b32 v3, v1, v0 offset0:76 offset1:184
	v_lshrrev_b32_e32 v0, 16, v5
	v_lshrrev_b32_e32 v1, 16, v16
	s_delay_alu instid0(VALU_DEP_1) | instskip(SKIP_1) | instid1(VALU_DEP_2)
	v_mul_f16_e32 v3, v0, v1
	v_mul_f16_e32 v1, v5, v1
	v_fma_f16 v3, v5, v16, -v3
	s_delay_alu instid0(VALU_DEP_2) | instskip(SKIP_4) | instid1(VALU_DEP_1)
	v_fmac_f16_e32 v1, v0, v16
	global_load_b32 v0, v151, s[2:3] offset:432
	v_lshrrev_b32_e32 v5, 16, v11
	s_wait_loadcnt 0x0
	v_lshrrev_b32_e32 v8, 16, v0
	v_mul_f16_e32 v9, v5, v8
	v_mul_f16_e32 v8, v11, v8
	s_delay_alu instid0(VALU_DEP_2) | instskip(NEXT) | instid1(VALU_DEP_2)
	v_fma_f16 v9, v11, v0, -v9
	v_fmac_f16_e32 v8, v5, v0
	v_lshrrev_b32_e32 v0, 16, v185
	v_lshrrev_b32_e32 v5, 16, v19
	s_delay_alu instid0(VALU_DEP_1) | instskip(SKIP_1) | instid1(VALU_DEP_2)
	v_mul_f16_e32 v11, v0, v5
	v_mul_f16_e64 v5, v185, v5
	v_fma_f16 v11, v185, v19, -v11
	s_delay_alu instid0(VALU_DEP_2) | instskip(SKIP_1) | instid1(VALU_DEP_2)
	v_fmac_f16_e32 v5, v0, v19
	v_lshrrev_b32_e32 v0, 16, v4
	v_pack_b32_f16 v5, v11, v5
	s_delay_alu instid0(VALU_DEP_2) | instskip(SKIP_1) | instid1(VALU_DEP_2)
	v_mul_f16_e32 v16, v0, v15
	v_mul_f16_e32 v15, v4, v15
	v_fma_f16 v4, v4, v13, -v16
	s_delay_alu instid0(VALU_DEP_2) | instskip(SKIP_2) | instid1(VALU_DEP_1)
	v_fmac_f16_e32 v15, v0, v13
	v_lshrrev_b32_e32 v0, 16, v188
	v_lshrrev_b32_e32 v13, 16, v14
	v_mul_f16_e32 v16, v0, v13
	v_mul_f16_e64 v13, v188, v13
	s_delay_alu instid0(VALU_DEP_2) | instskip(NEXT) | instid1(VALU_DEP_2)
	v_fma_f16 v16, v188, v14, -v16
	v_fmac_f16_e32 v13, v0, v14
	v_pack_b32_f16 v0, v9, v8
	v_lshrrev_b32_e32 v8, 16, v7
	ds_store_2addr_b32 v151, v0, v5 offset0:108 offset1:216
	v_pack_b32_f16 v0, v4, v15
	v_pack_b32_f16 v4, v16, v13
	v_lshrrev_b32_e32 v13, 16, v21
	ds_store_2addr_b32 v111, v0, v4 offset0:124 offset1:232
	v_lshrrev_b32_e32 v0, 16, v187
	v_lshrrev_b32_e32 v4, 16, v17
	s_delay_alu instid0(VALU_DEP_1) | instskip(SKIP_1) | instid1(VALU_DEP_2)
	v_mul_f16_e32 v5, v0, v4
	v_mul_f16_e64 v4, v187, v4
	v_fma_f16 v5, v187, v17, -v5
	s_delay_alu instid0(VALU_DEP_2) | instskip(SKIP_3) | instid1(VALU_DEP_1)
	v_fmac_f16_e32 v4, v0, v17
	global_load_b32 v0, v151, s[2:3] offset:10800
	s_wait_loadcnt 0x0
	v_lshrrev_b32_e32 v9, 16, v0
	v_mul_f16_e32 v11, v8, v9
	v_mul_f16_e32 v9, v7, v9
	s_delay_alu instid0(VALU_DEP_2) | instskip(NEXT) | instid1(VALU_DEP_2)
	v_fma_f16 v7, v7, v0, -v11
	v_fmac_f16_e32 v9, v8, v0
	v_lshrrev_b32_e32 v0, 16, v195
	v_lshrrev_b32_e32 v8, 16, v18
	s_delay_alu instid0(VALU_DEP_1) | instskip(SKIP_1) | instid1(VALU_DEP_2)
	v_mul_f16_e32 v11, v0, v8
	v_mul_f16_e64 v8, v195, v8
	v_fma_f16 v11, v195, v18, -v11
	s_delay_alu instid0(VALU_DEP_2) | instskip(SKIP_1) | instid1(VALU_DEP_1)
	v_fmac_f16_e32 v8, v0, v18
	v_lshrrev_b32_e32 v0, 16, v2
	v_mul_f16_e32 v14, v0, v13
	v_mul_f16_e32 v13, v2, v13
	s_delay_alu instid0(VALU_DEP_2) | instskip(NEXT) | instid1(VALU_DEP_2)
	v_fma_f16 v2, v2, v21, -v14
	v_fmac_f16_e32 v13, v0, v21
	v_pack_b32_f16 v0, v5, v4
	v_pack_b32_f16 v4, v11, v8
	v_lshrrev_b32_e32 v5, 16, v12
	s_delay_alu instid0(VALU_DEP_4)
	v_pack_b32_f16 v2, v2, v13
	ds_store_2addr_b32 v114, v0, v4 offset0:28 offset1:136
	v_pack_b32_f16 v0, v7, v9
	ds_store_2addr_b32 v190, v0, v2 offset0:140 offset1:248
	v_lshrrev_b32_e32 v0, 16, v194
	v_lshrrev_b32_e32 v2, 16, v6
	s_delay_alu instid0(VALU_DEP_1) | instskip(SKIP_1) | instid1(VALU_DEP_2)
	v_mul_f16_e32 v4, v0, v2
	v_mul_f16_e64 v2, v194, v2
	v_fma_f16 v4, v194, v6, -v4
	s_delay_alu instid0(VALU_DEP_2) | instskip(SKIP_1) | instid1(VALU_DEP_1)
	v_fmac_f16_e32 v2, v0, v6
	v_lshrrev_b32_e32 v0, 16, v10
	v_mul_f16_e32 v6, v0, v5
	v_mul_f16_e32 v5, v10, v5
	s_delay_alu instid0(VALU_DEP_2) | instskip(NEXT) | instid1(VALU_DEP_2)
	v_fma_f16 v6, v10, v12, -v6
	v_fmac_f16_e32 v5, v0, v12
	v_pack_b32_f16 v0, v3, v1
	v_pack_b32_f16 v1, v4, v2
	ds_store_2addr_b32 v159, v1, v0 offset0:4 offset1:112
	v_pack_b32_f16 v0, v6, v5
	ds_store_b32 v151, v0 offset:12528
	global_wb scope:SCOPE_SE
	s_wait_dscnt 0x0
	s_barrier_signal -1
	s_barrier_wait -1
	global_inv scope:SCOPE_SE
	ds_load_2addr_b32 v[0:1], v113 offset0:88 offset1:196
	ds_load_2addr_b32 v[2:3], v111 offset0:16 offset1:124
	ds_load_2addr_b32 v[4:5], v147 offset0:72 offset1:180
	s_wait_dscnt 0x1
	v_pk_add_f16 v6, v0, v2
	s_wait_dscnt 0x0
	v_pk_add_f16 v7, v2, v4
	v_pk_add_f16 v8, v1, v3
	v_pk_add_f16 v9, v2, v4 neg_lo:[0,1] neg_hi:[0,1]
	v_pk_add_f16 v2, v3, v5
	v_pk_add_f16 v10, v3, v5 neg_lo:[0,1] neg_hi:[0,1]
	v_pk_add_f16 v11, v6, v4
	v_pk_add_f16 v8, v8, v5
	v_pk_fma_f16 v12, v7, 0.5, v0 op_sel_hi:[1,0,1] neg_lo:[1,0,0] neg_hi:[1,0,0]
	v_pk_fma_f16 v13, v2, 0.5, v1 op_sel_hi:[1,0,1] neg_lo:[1,0,0] neg_hi:[1,0,0]
	ds_load_2addr_b32 v[0:1], v197 offset0:48 offset1:156
	ds_load_2addr_b32 v[2:3], v112 offset0:104 offset1:212
	;; [unrolled: 1-line block ×3, first 2 shown]
	s_wait_dscnt 0x1
	v_pk_add_f16 v6, v0, v2
	s_wait_dscnt 0x0
	v_pk_add_f16 v7, v2, v4
	v_pk_add_f16 v14, v1, v3
	v_pk_add_f16 v15, v2, v4 neg_lo:[0,1] neg_hi:[0,1]
	v_pk_add_f16 v2, v3, v5
	v_pk_add_f16 v16, v3, v5 neg_lo:[0,1] neg_hi:[0,1]
	v_pk_add_f16 v17, v6, v4
	v_pk_add_f16 v14, v14, v5
	v_pk_fma_f16 v18, v7, 0.5, v0 op_sel_hi:[1,0,1] neg_lo:[1,0,0] neg_hi:[1,0,0]
	v_pk_fma_f16 v19, v2, 0.5, v1 op_sel_hi:[1,0,1] neg_lo:[1,0,0] neg_hi:[1,0,0]
	ds_load_2addr_b32 v[0:1], v114 offset0:136 offset1:244
	ds_load_2addr_b32 v[2:3], v223 offset0:64 offset1:172
	;; [unrolled: 1-line block ×3, first 2 shown]
	s_wait_dscnt 0x1
	v_pk_add_f16 v6, v0, v2
	s_wait_dscnt 0x0
	v_pk_add_f16 v7, v2, v4
	v_pk_add_f16 v21, v2, v4 neg_lo:[0,1] neg_hi:[0,1]
	v_pk_add_f16 v2, v3, v5
	v_pk_add_f16 v20, v1, v3
	v_pk_add_f16 v22, v3, v5 neg_lo:[0,1] neg_hi:[0,1]
	v_pk_fma_f16 v24, v7, 0.5, v0 op_sel_hi:[1,0,1] neg_lo:[1,0,0] neg_hi:[1,0,0]
	v_pk_add_f16 v23, v6, v4
	v_pk_fma_f16 v25, v2, 0.5, v1 op_sel_hi:[1,0,1] neg_lo:[1,0,0] neg_hi:[1,0,0]
	ds_load_2addr_b32 v[0:1], v89 offset0:96 offset1:204
	ds_load_2addr_b32 v[2:3], v136 offset0:24 offset1:132
	v_pk_add_f16 v20, v20, v5
	ds_load_2addr_b32 v[4:5], v174 offset0:80 offset1:188
	s_wait_dscnt 0x1
	v_pk_add_f16 v6, v0, v2
	v_pk_add_f16 v7, v1, v3
	s_wait_dscnt 0x0
	v_pk_add_f16 v26, v2, v4
	v_pk_add_f16 v27, v2, v4 neg_lo:[0,1] neg_hi:[0,1]
	v_pk_add_f16 v28, v3, v5
	v_pk_add_f16 v30, v3, v5 neg_lo:[0,1] neg_hi:[0,1]
	v_pk_add_f16 v31, v6, v4
	v_pk_add_f16 v64, v7, v5
	ds_load_2addr_b32 v[2:3], v151 offset1:108
	ds_load_2addr_b32 v[4:5], v160 offset0:56 offset1:164
	ds_load_2addr_b32 v[6:7], v159 offset0:112 offset1:220
	global_wb scope:SCOPE_SE
	s_wait_dscnt 0x0
	s_barrier_signal -1
	s_barrier_wait -1
	global_inv scope:SCOPE_SE
	v_pk_fma_f16 v0, v26, 0.5, v0 op_sel_hi:[1,0,1] neg_lo:[1,0,0] neg_hi:[1,0,0]
	v_pk_add_f16 v128, v2, v4
	v_pk_add_f16 v129, v4, v6
	v_pk_add_f16 v4, v4, v6 neg_lo:[0,1] neg_hi:[0,1]
	v_pk_add_f16 v85, v3, v5
	v_pk_add_f16 v86, v5, v7
	v_pk_add_f16 v5, v5, v7 neg_lo:[0,1] neg_hi:[0,1]
	v_pk_fma_f16 v2, v129, 0.5, v2 op_sel_hi:[1,0,1] neg_lo:[1,0,0] neg_hi:[1,0,0]
	v_pk_mul_f16 v4, 0x3aee, v4 op_sel_hi:[0,1]
	v_pk_add_f16 v7, v85, v7
	v_pk_add_f16 v6, v128, v6
	v_pk_fma_f16 v3, v86, 0.5, v3 op_sel_hi:[1,0,1] neg_lo:[1,0,0] neg_hi:[1,0,0]
	s_delay_alu instid0(VALU_DEP_4) | instskip(SKIP_1) | instid1(VALU_DEP_1)
	v_pk_add_f16 v85, v2, v4 op_sel:[0,1] op_sel_hi:[1,0] neg_lo:[0,1] neg_hi:[0,1]
	v_pk_add_f16 v2, v2, v4 op_sel:[0,1] op_sel_hi:[1,0]
	v_bfi_b32 v4, 0xffff, v85, v2
	v_bfi_b32 v2, 0xffff, v2, v85
	scratch_load_b32 v85, off, off offset:248 th:TH_LOAD_LU ; 4-byte Folded Reload
	s_wait_loadcnt 0x0
	ds_store_2addr_b32 v85, v6, v4 offset1:1
	ds_store_b32 v85, v2 offset:8
	v_pk_mul_f16 v2, 0x3aee, v5 op_sel_hi:[0,1]
	s_delay_alu instid0(VALU_DEP_1) | instskip(SKIP_1) | instid1(VALU_DEP_1)
	v_pk_add_f16 v4, v3, v2 op_sel:[0,1] op_sel_hi:[1,0] neg_lo:[0,1] neg_hi:[0,1]
	v_pk_add_f16 v2, v3, v2 op_sel:[0,1] op_sel_hi:[1,0]
	v_bfi_b32 v3, 0xffff, v4, v2
	v_bfi_b32 v2, 0xffff, v2, v4
	scratch_load_b32 v4, off, off offset:252 th:TH_LOAD_LU ; 4-byte Folded Reload
	s_wait_loadcnt 0x0
	ds_store_2addr_b32 v4, v7, v3 offset1:1
	ds_store_b32 v4, v2 offset:8
	v_pk_mul_f16 v2, 0x3aee, v9 op_sel_hi:[0,1]
	s_delay_alu instid0(VALU_DEP_1) | instskip(SKIP_1) | instid1(VALU_DEP_1)
	;; [unrolled: 10-line block ×3, first 2 shown]
	v_pk_add_f16 v3, v13, v2 op_sel:[0,1] op_sel_hi:[1,0] neg_lo:[0,1] neg_hi:[0,1]
	v_pk_add_f16 v2, v13, v2 op_sel:[0,1] op_sel_hi:[1,0]
	v_bfi_b32 v4, 0xffff, v3, v2
	v_bfi_b32 v2, 0xffff, v2, v3
	scratch_load_b32 v3, off, off offset:264 th:TH_LOAD_LU ; 4-byte Folded Reload
	s_wait_loadcnt 0x0
	ds_store_2addr_b32 v3, v8, v4 offset1:1
	ds_store_b32 v3, v2 offset:8
	v_pk_mul_f16 v2, 0x3aee, v15 op_sel_hi:[0,1]
	v_lshrrev_b32_e32 v8, 16, v78
	s_delay_alu instid0(VALU_DEP_2) | instskip(SKIP_1) | instid1(VALU_DEP_1)
	v_pk_add_f16 v3, v18, v2 op_sel:[0,1] op_sel_hi:[1,0] neg_lo:[0,1] neg_hi:[0,1]
	v_pk_add_f16 v2, v18, v2 op_sel:[0,1] op_sel_hi:[1,0]
	v_bfi_b32 v4, 0xffff, v3, v2
	v_bfi_b32 v2, 0xffff, v2, v3
	scratch_load_b32 v3, off, off offset:260 th:TH_LOAD_LU ; 4-byte Folded Reload
	s_wait_loadcnt 0x0
	ds_store_2addr_b32 v3, v17, v4 offset1:1
	ds_store_b32 v3, v2 offset:8
	v_pk_mul_f16 v2, 0x3aee, v16 op_sel_hi:[0,1]
	v_lshrrev_b32_e32 v16, 16, v70
	s_delay_alu instid0(VALU_DEP_2) | instskip(SKIP_1) | instid1(VALU_DEP_1)
	v_pk_add_f16 v3, v19, v2 op_sel:[0,1] op_sel_hi:[1,0] neg_lo:[0,1] neg_hi:[0,1]
	v_pk_add_f16 v2, v19, v2 op_sel:[0,1] op_sel_hi:[1,0]
	v_bfi_b32 v4, 0xffff, v3, v2
	v_bfi_b32 v2, 0xffff, v2, v3
	scratch_load_b32 v3, off, off offset:272 th:TH_LOAD_LU ; 4-byte Folded Reload
	s_wait_loadcnt 0x0
	ds_store_2addr_b32 v3, v14, v4 offset1:1
	ds_store_b32 v3, v2 offset:8
	v_pk_mul_f16 v2, 0x3aee, v21 op_sel_hi:[0,1]
	s_delay_alu instid0(VALU_DEP_1) | instskip(SKIP_2) | instid1(VALU_DEP_2)
	v_pk_add_f16 v3, v24, v2 op_sel:[0,1] op_sel_hi:[1,0] neg_lo:[0,1] neg_hi:[0,1]
	v_pk_add_f16 v2, v24, v2 op_sel:[0,1] op_sel_hi:[1,0]
	v_lshrrev_b32_e32 v24, 16, v84
	v_bfi_b32 v4, 0xffff, v3, v2
	v_bfi_b32 v2, 0xffff, v2, v3
	scratch_load_b32 v3, off, off offset:268 th:TH_LOAD_LU ; 4-byte Folded Reload
	s_wait_loadcnt 0x0
	ds_store_2addr_b32 v3, v23, v4 offset1:1
	ds_store_b32 v3, v2 offset:8
	v_pk_mul_f16 v2, 0x3aee, v22 op_sel_hi:[0,1]
	s_delay_alu instid0(VALU_DEP_1) | instskip(SKIP_1) | instid1(VALU_DEP_1)
	v_pk_add_f16 v3, v25, v2 op_sel:[0,1] op_sel_hi:[1,0] neg_lo:[0,1] neg_hi:[0,1]
	v_pk_add_f16 v2, v25, v2 op_sel:[0,1] op_sel_hi:[1,0]
	v_bfi_b32 v4, 0xffff, v3, v2
	v_bfi_b32 v2, 0xffff, v2, v3
	scratch_load_b32 v3, off, off offset:280 th:TH_LOAD_LU ; 4-byte Folded Reload
	s_wait_loadcnt 0x0
	ds_store_2addr_b32 v3, v20, v4 offset1:1
	ds_store_b32 v3, v2 offset:8
	v_pk_mul_f16 v2, 0x3aee, v27 op_sel_hi:[0,1]
	v_lshrrev_b32_e32 v4, 16, v77
	s_delay_alu instid0(VALU_DEP_2) | instskip(SKIP_1) | instid1(VALU_DEP_1)
	v_pk_add_f16 v3, v0, v2 op_sel:[0,1] op_sel_hi:[1,0] neg_lo:[0,1] neg_hi:[0,1]
	v_pk_add_f16 v0, v0, v2 op_sel:[0,1] op_sel_hi:[1,0]
	v_bfi_b32 v2, 0xffff, v3, v0
	v_bfi_b32 v0, 0xffff, v0, v3
	scratch_load_b32 v3, off, off offset:284 th:TH_LOAD_LU ; 4-byte Folded Reload
	s_wait_loadcnt 0x0
	ds_store_2addr_b32 v3, v31, v2 offset1:1
	ds_store_b32 v3, v0 offset:8
	v_pk_fma_f16 v0, v28, 0.5, v1 op_sel_hi:[1,0,1] neg_lo:[1,0,0] neg_hi:[1,0,0]
	v_pk_mul_f16 v1, 0x3aee, v30 op_sel_hi:[0,1]
	s_delay_alu instid0(VALU_DEP_1) | instskip(SKIP_1) | instid1(VALU_DEP_1)
	v_pk_add_f16 v2, v0, v1 op_sel:[0,1] op_sel_hi:[1,0] neg_lo:[0,1] neg_hi:[0,1]
	v_pk_add_f16 v0, v0, v1 op_sel:[0,1] op_sel_hi:[1,0]
	v_bfi_b32 v1, 0xffff, v2, v0
	v_bfi_b32 v0, 0xffff, v0, v2
	scratch_load_b32 v2, off, off offset:276 th:TH_LOAD_LU ; 4-byte Folded Reload
	s_wait_loadcnt 0x0
	ds_store_2addr_b32 v2, v64, v1 offset1:1
	ds_store_b32 v2, v0 offset:8
	global_wb scope:SCOPE_SE
	s_wait_dscnt 0x0
	s_barrier_signal -1
	s_barrier_wait -1
	global_inv scope:SCOPE_SE
	ds_load_2addr_b32 v[0:1], v160 offset0:56 offset1:164
	s_wait_dscnt 0x0
	v_lshrrev_b32_e32 v2, 16, v0
	v_mul_f16_e32 v3, v4, v0
	s_delay_alu instid0(VALU_DEP_2) | instskip(NEXT) | instid1(VALU_DEP_2)
	v_mul_f16_e32 v4, v4, v2
	v_fma_f16 v5, v77, v2, -v3
	ds_load_2addr_b32 v[2:3], v159 offset0:112 offset1:220
	v_fmac_f16_e32 v4, v77, v0
	v_lshrrev_b32_e32 v0, 16, v1
	s_wait_dscnt 0x0
	v_lshrrev_b32_e32 v6, 16, v2
	v_mul_f16_e32 v7, v8, v2
	s_delay_alu instid0(VALU_DEP_2) | instskip(NEXT) | instid1(VALU_DEP_2)
	v_mul_f16_e32 v8, v8, v6
	v_fma_f16 v6, v78, v6, -v7
	v_lshrrev_b32_e32 v7, 16, v74
	s_delay_alu instid0(VALU_DEP_3) | instskip(SKIP_1) | instid1(VALU_DEP_1)
	v_fmac_f16_e32 v8, v78, v2
	v_lshrrev_b32_e32 v2, 16, v73
	v_mul_f16_e32 v10, v2, v0
	s_delay_alu instid0(VALU_DEP_1) | instskip(SKIP_2) | instid1(VALU_DEP_2)
	v_fmac_f16_e32 v10, v73, v1
	v_mul_f16_e32 v1, v2, v1
	v_lshrrev_b32_e32 v2, 16, v3
	v_fma_f16 v12, v73, v0, -v1
	ds_load_2addr_b32 v[0:1], v111 offset0:16 offset1:124
	v_mul_f16_e32 v11, v7, v2
	v_mul_f16_e32 v7, v7, v3
	s_delay_alu instid0(VALU_DEP_2) | instskip(NEXT) | instid1(VALU_DEP_2)
	v_fmac_f16_e32 v11, v74, v3
	v_fma_f16 v13, v74, v2, -v7
	v_lshrrev_b32_e32 v7, 16, v69
	s_wait_dscnt 0x0
	v_lshrrev_b32_e32 v2, 16, v0
	s_delay_alu instid0(VALU_DEP_2) | instskip(NEXT) | instid1(VALU_DEP_2)
	v_mul_f16_e32 v3, v7, v0
	v_mul_f16_e32 v14, v7, v2
	s_delay_alu instid0(VALU_DEP_2)
	v_fma_f16 v15, v69, v2, -v3
	ds_load_2addr_b32 v[2:3], v147 offset0:72 offset1:180
	v_fmac_f16_e32 v14, v69, v0
	v_lshrrev_b32_e32 v0, 16, v1
	s_wait_dscnt 0x0
	v_lshrrev_b32_e32 v7, 16, v2
	v_mul_f16_e32 v9, v16, v2
	s_delay_alu instid0(VALU_DEP_2) | instskip(NEXT) | instid1(VALU_DEP_2)
	v_mul_f16_e32 v16, v16, v7
	v_fma_f16 v17, v70, v7, -v9
	v_lshrrev_b32_e32 v7, 16, v66
	s_delay_alu instid0(VALU_DEP_3) | instskip(SKIP_1) | instid1(VALU_DEP_1)
	v_fmac_f16_e32 v16, v70, v2
	v_lshrrev_b32_e32 v2, 16, v65
	v_mul_f16_e32 v18, v2, v0
	s_delay_alu instid0(VALU_DEP_1) | instskip(SKIP_2) | instid1(VALU_DEP_2)
	v_fmac_f16_e32 v18, v65, v1
	v_mul_f16_e32 v1, v2, v1
	v_lshrrev_b32_e32 v2, 16, v3
	v_fma_f16 v20, v65, v0, -v1
	ds_load_2addr_b32 v[0:1], v112 offset0:104 offset1:212
	v_mul_f16_e32 v19, v7, v2
	v_mul_f16_e32 v7, v7, v3
	v_lshrrev_b32_e32 v65, 16, v80
	s_delay_alu instid0(VALU_DEP_3) | instskip(NEXT) | instid1(VALU_DEP_3)
	v_fmac_f16_e32 v19, v66, v3
	v_fma_f16 v21, v66, v2, -v7
	v_lshrrev_b32_e32 v7, 16, v83
	s_wait_dscnt 0x0
	v_lshrrev_b32_e32 v2, 16, v0
	s_delay_alu instid0(VALU_DEP_2) | instskip(NEXT) | instid1(VALU_DEP_2)
	v_mul_f16_e32 v3, v7, v0
	v_mul_f16_e32 v22, v7, v2
	s_delay_alu instid0(VALU_DEP_2)
	v_fma_f16 v23, v83, v2, -v3
	ds_load_2addr_b32 v[2:3], v190 offset0:32 offset1:140
	v_fmac_f16_e32 v22, v83, v0
	v_lshrrev_b32_e32 v0, 16, v1
	s_wait_dscnt 0x0
	v_lshrrev_b32_e32 v7, 16, v2
	v_mul_f16_e32 v9, v24, v2
	s_delay_alu instid0(VALU_DEP_2) | instskip(NEXT) | instid1(VALU_DEP_2)
	v_mul_f16_e32 v24, v24, v7
	v_fma_f16 v25, v84, v7, -v9
	v_lshrrev_b32_e32 v7, 16, v82
	s_delay_alu instid0(VALU_DEP_3) | instskip(SKIP_1) | instid1(VALU_DEP_1)
	v_fmac_f16_e32 v24, v84, v2
	v_lshrrev_b32_e32 v2, 16, v81
	v_mul_f16_e32 v26, v2, v0
	s_delay_alu instid0(VALU_DEP_1) | instskip(SKIP_2) | instid1(VALU_DEP_2)
	v_fmac_f16_e32 v26, v81, v1
	v_mul_f16_e32 v1, v2, v1
	v_lshrrev_b32_e32 v2, 16, v3
	v_fma_f16 v28, v81, v0, -v1
	ds_load_2addr_b32 v[0:1], v223 offset0:64 offset1:172
	v_mul_f16_e32 v27, v7, v2
	v_mul_f16_e32 v7, v7, v3
	v_sub_f16_e32 v81, v4, v8
	s_delay_alu instid0(VALU_DEP_3) | instskip(NEXT) | instid1(VALU_DEP_3)
	v_fmac_f16_e32 v27, v82, v3
	v_fma_f16 v30, v82, v2, -v7
	v_lshrrev_b32_e32 v7, 16, v79
	s_wait_dscnt 0x0
	v_lshrrev_b32_e32 v2, 16, v0
	s_delay_alu instid0(VALU_DEP_2) | instskip(NEXT) | instid1(VALU_DEP_2)
	v_mul_f16_e32 v3, v7, v0
	v_mul_f16_e32 v31, v7, v2
	s_delay_alu instid0(VALU_DEP_2)
	v_fma_f16 v64, v79, v2, -v3
	ds_load_2addr_b32 v[2:3], v93 offset0:120 offset1:228
	v_fmac_f16_e32 v31, v79, v0
	v_lshrrev_b32_e32 v0, 16, v1
	s_wait_dscnt 0x0
	v_lshrrev_b32_e32 v7, 16, v2
	v_mul_f16_e32 v9, v65, v2
	s_delay_alu instid0(VALU_DEP_2) | instskip(NEXT) | instid1(VALU_DEP_2)
	v_mul_f16_e32 v65, v65, v7
	v_fma_f16 v66, v80, v7, -v9
	v_lshrrev_b32_e32 v7, 16, v76
	s_delay_alu instid0(VALU_DEP_3) | instskip(SKIP_2) | instid1(VALU_DEP_2)
	v_fmac_f16_e32 v65, v80, v2
	v_lshrrev_b32_e32 v2, 16, v75
	v_sub_f16_e32 v80, v5, v6
	v_mul_f16_e32 v69, v2, v0
	s_delay_alu instid0(VALU_DEP_1) | instskip(SKIP_2) | instid1(VALU_DEP_2)
	v_fmac_f16_e32 v69, v75, v1
	v_mul_f16_e32 v1, v2, v1
	v_lshrrev_b32_e32 v2, 16, v3
	v_fma_f16 v73, v75, v0, -v1
	ds_load_2addr_b32 v[0:1], v136 offset0:24 offset1:132
	v_mul_f16_e32 v70, v7, v2
	v_mul_f16_e32 v7, v7, v3
	s_delay_alu instid0(VALU_DEP_2) | instskip(NEXT) | instid1(VALU_DEP_2)
	v_fmac_f16_e32 v70, v76, v3
	v_fma_f16 v74, v76, v2, -v7
	s_wait_dscnt 0x0
	v_lshrrev_b32_e32 v2, 16, v0
	v_mul_f16_e64 v3, v218, v0
	s_delay_alu instid0(VALU_DEP_2) | instskip(NEXT) | instid1(VALU_DEP_2)
	v_mul_f16_e64 v75, v218, v2
	v_fma_f16 v76, v71, v2, -v3
	ds_load_2addr_b32 v[2:3], v174 offset0:80 offset1:188
	v_fmac_f16_e32 v75, v71, v0
	v_lshrrev_b32_e32 v0, 16, v1
	s_delay_alu instid0(VALU_DEP_1) | instskip(NEXT) | instid1(VALU_DEP_1)
	v_mul_f16_e64 v71, v235, v0
	v_fmac_f16_e32 v71, v67, v1
	v_mul_f16_e64 v1, v235, v1
	s_wait_dscnt 0x0
	v_lshrrev_b32_e32 v7, 16, v2
	s_delay_alu instid0(VALU_DEP_2) | instskip(SKIP_3) | instid1(VALU_DEP_2)
	v_fma_f16 v67, v67, v0, -v1
	ds_load_2addr_b32 v[0:1], v151 offset1:108
	v_mul_f16_e64 v9, v237, v2
	v_mul_f16_e64 v77, v237, v7
	v_fma_f16 v78, v72, v7, -v9
	v_mul_f16_e64 v7, v178, v3
	s_delay_alu instid0(VALU_DEP_3) | instskip(SKIP_1) | instid1(VALU_DEP_1)
	v_fmac_f16_e32 v77, v72, v2
	v_lshrrev_b32_e32 v2, 16, v3
	v_mul_f16_e64 v72, v178, v2
	s_delay_alu instid0(VALU_DEP_1) | instskip(SKIP_4) | instid1(VALU_DEP_3)
	v_fmac_f16_e32 v72, v68, v3
	s_wait_dscnt 0x0
	v_lshrrev_b32_e32 v79, 16, v0
	v_add_f16_e32 v3, v5, v6
	v_fma_f16 v68, v68, v2, -v7
	v_add_f16_e32 v2, v79, v5
	s_delay_alu instid0(VALU_DEP_3) | instskip(SKIP_2) | instid1(VALU_DEP_4)
	v_fmac_f16_e32 v79, -0.5, v3
	v_add_f16_e32 v3, v0, v4
	v_add_f16_e32 v5, v4, v8
	;; [unrolled: 1-line block ×3, first 2 shown]
	s_delay_alu instid0(VALU_DEP_3) | instskip(NEXT) | instid1(VALU_DEP_3)
	v_add_f16_e32 v3, v3, v8
	v_fma_f16 v0, -0.5, v5, v0
	s_delay_alu instid0(VALU_DEP_2) | instskip(NEXT) | instid1(VALU_DEP_2)
	v_pack_b32_f16 v82, v3, v2
	v_fmamk_f16 v2, v80, 0xbaee, v0
	v_fmamk_f16 v3, v81, 0x3aee, v79
	v_fmac_f16_e32 v0, 0x3aee, v80
	v_fmac_f16_e32 v79, 0xbaee, v81
	v_add_f16_e32 v80, v1, v10
	s_delay_alu instid0(VALU_DEP_4)
	v_pack_b32_f16 v83, v2, v3
	ds_load_2addr_b32 v[2:3], v113 offset0:88 offset1:196
	ds_load_2addr_b32 v[4:5], v197 offset0:48 offset1:156
	ds_load_2addr_b32 v[6:7], v114 offset0:136 offset1:244
	ds_load_2addr_b32 v[8:9], v89 offset0:96 offset1:204
	global_wb scope:SCOPE_SE
	s_wait_dscnt 0x0
	s_barrier_signal -1
	s_barrier_wait -1
	global_inv scope:SCOPE_SE
	scratch_load_b32 v84, off, off offset:288 th:TH_LOAD_LU ; 4-byte Folded Reload
	v_pack_b32_f16 v0, v0, v79
	v_lshrrev_b32_e32 v79, 16, v1
	s_wait_loadcnt 0x0
	ds_store_b32 v84, v0 offset:24
	v_add_f16_e32 v0, v10, v11
	ds_store_2addr_b32 v84, v82, v83 offset1:3
	v_fmac_f16_e32 v1, -0.5, v0
	v_sub_f16_e32 v0, v12, v13
	s_delay_alu instid0(VALU_DEP_1) | instskip(SKIP_3) | instid1(VALU_DEP_2)
	v_fmamk_f16 v81, v0, 0xbaee, v1
	v_fmac_f16_e32 v1, 0x3aee, v0
	v_add_f16_e32 v0, v12, v13
	v_add_f16_e32 v12, v79, v12
	v_fmac_f16_e32 v79, -0.5, v0
	v_sub_f16_e32 v0, v10, v11
	s_delay_alu instid0(VALU_DEP_1) | instskip(SKIP_1) | instid1(VALU_DEP_2)
	v_fmamk_f16 v10, v0, 0x3aee, v79
	v_fmac_f16_e32 v79, 0xbaee, v0
	v_pack_b32_f16 v10, v81, v10
	s_delay_alu instid0(VALU_DEP_2) | instskip(SKIP_4) | instid1(VALU_DEP_3)
	v_pack_b32_f16 v0, v1, v79
	v_add_f16_e32 v1, v80, v11
	v_add_f16_e32 v11, v12, v13
	;; [unrolled: 1-line block ×3, first 2 shown]
	v_sub_f16_e32 v13, v14, v16
	v_pack_b32_f16 v1, v1, v11
	scratch_load_b32 v11, off, off offset:292 th:TH_LOAD_LU ; 4-byte Folded Reload
	s_wait_loadcnt 0x0
	ds_store_2addr_b32 v11, v1, v10 offset1:3
	ds_store_b32 v11, v0 offset:24
	v_lshrrev_b32_e32 v0, 16, v2
	v_add_f16_e32 v10, v15, v17
	v_sub_f16_e32 v11, v15, v17
	s_delay_alu instid0(VALU_DEP_3) | instskip(NEXT) | instid1(VALU_DEP_3)
	v_add_f16_e32 v1, v0, v15
	v_fmac_f16_e32 v0, -0.5, v10
	v_add_f16_e32 v10, v2, v14
	v_fma_f16 v2, -0.5, v12, v2
	s_delay_alu instid0(VALU_DEP_4) | instskip(NEXT) | instid1(VALU_DEP_4)
	v_add_f16_e32 v1, v1, v17
	v_fmamk_f16 v12, v13, 0x3aee, v0
	s_delay_alu instid0(VALU_DEP_4) | instskip(SKIP_1) | instid1(VALU_DEP_2)
	v_add_f16_e32 v10, v10, v16
	v_fmac_f16_e32 v0, 0xbaee, v13
	v_pack_b32_f16 v1, v10, v1
	v_fmamk_f16 v10, v11, 0xbaee, v2
	v_fmac_f16_e32 v2, 0x3aee, v11
	s_delay_alu instid0(VALU_DEP_2)
	v_pack_b32_f16 v10, v10, v12
	scratch_load_b32 v12, off, off offset:296 th:TH_LOAD_LU ; 4-byte Folded Reload
	v_pack_b32_f16 v0, v2, v0
	v_add_f16_e32 v2, v3, v18
	s_wait_loadcnt 0x0
	ds_store_b32 v12, v0 offset:24
	v_add_f16_e32 v0, v18, v19
	ds_store_2addr_b32 v12, v1, v10 offset1:3
	v_lshrrev_b32_e32 v1, 16, v3
	v_fmac_f16_e32 v3, -0.5, v0
	v_sub_f16_e32 v0, v20, v21
	s_delay_alu instid0(VALU_DEP_3) | instskip(NEXT) | instid1(VALU_DEP_2)
	v_add_f16_e32 v11, v1, v20
	v_fmamk_f16 v10, v0, 0xbaee, v3
	v_fmac_f16_e32 v3, 0x3aee, v0
	v_add_f16_e32 v0, v20, v21
	s_delay_alu instid0(VALU_DEP_1) | instskip(SKIP_1) | instid1(VALU_DEP_1)
	v_fmac_f16_e32 v1, -0.5, v0
	v_sub_f16_e32 v0, v18, v19
	v_fmamk_f16 v12, v0, 0x3aee, v1
	v_fmac_f16_e32 v1, 0xbaee, v0
	s_delay_alu instid0(VALU_DEP_1) | instskip(SKIP_4) | instid1(VALU_DEP_2)
	v_pack_b32_f16 v0, v3, v1
	scratch_load_b32 v3, off, off offset:300 th:TH_LOAD_LU ; 4-byte Folded Reload
	v_add_f16_e32 v1, v2, v19
	v_add_f16_e32 v2, v11, v21
	v_sub_f16_e32 v11, v22, v24
	v_pack_b32_f16 v1, v1, v2
	v_pack_b32_f16 v2, v10, v12
	s_wait_loadcnt 0x0
	ds_store_2addr_b32 v3, v1, v2 offset1:3
	ds_store_b32 v3, v0 offset:24
	v_lshrrev_b32_e32 v0, 16, v4
	v_add_f16_e32 v2, v23, v25
	v_add_f16_e32 v10, v22, v24
	v_sub_f16_e32 v3, v23, v25
	s_delay_alu instid0(VALU_DEP_4) | instskip(NEXT) | instid1(VALU_DEP_4)
	v_add_f16_e32 v1, v0, v23
	v_fmac_f16_e32 v0, -0.5, v2
	v_add_f16_e32 v2, v4, v22
	s_delay_alu instid0(VALU_DEP_3) | instskip(NEXT) | instid1(VALU_DEP_2)
	v_add_f16_e32 v1, v1, v25
	v_add_f16_e32 v2, v2, v24
	s_delay_alu instid0(VALU_DEP_1) | instskip(SKIP_3) | instid1(VALU_DEP_3)
	v_pack_b32_f16 v1, v2, v1
	v_fma_f16 v2, -0.5, v10, v4
	v_fmamk_f16 v10, v11, 0x3aee, v0
	v_fmac_f16_e32 v0, 0xbaee, v11
	v_fmamk_f16 v4, v3, 0xbaee, v2
	v_fmac_f16_e32 v2, 0x3aee, v3
	s_delay_alu instid0(VALU_DEP_2)
	v_pack_b32_f16 v4, v4, v10
	scratch_load_b32 v10, off, off offset:304 th:TH_LOAD_LU ; 4-byte Folded Reload
	v_pack_b32_f16 v0, v2, v0
	v_add_f16_e32 v2, v5, v26
	s_wait_loadcnt 0x0
	ds_store_b32 v10, v0 offset:24
	v_add_f16_e32 v0, v26, v27
	ds_store_2addr_b32 v10, v1, v4 offset1:3
	v_lshrrev_b32_e32 v1, 16, v5
	v_fmac_f16_e32 v5, -0.5, v0
	v_sub_f16_e32 v0, v28, v30
	s_delay_alu instid0(VALU_DEP_3) | instskip(NEXT) | instid1(VALU_DEP_2)
	v_add_f16_e32 v4, v1, v28
	v_fmamk_f16 v3, v0, 0xbaee, v5
	v_fmac_f16_e32 v5, 0x3aee, v0
	v_add_f16_e32 v0, v28, v30
	s_delay_alu instid0(VALU_DEP_1) | instskip(SKIP_1) | instid1(VALU_DEP_1)
	v_fmac_f16_e32 v1, -0.5, v0
	v_sub_f16_e32 v0, v26, v27
	v_fmamk_f16 v10, v0, 0x3aee, v1
	v_fmac_f16_e32 v1, 0xbaee, v0
	s_delay_alu instid0(VALU_DEP_1) | instskip(SKIP_4) | instid1(VALU_DEP_3)
	v_pack_b32_f16 v0, v5, v1
	v_add_f16_e32 v1, v2, v27
	v_add_f16_e32 v2, v4, v30
	;; [unrolled: 1-line block ×3, first 2 shown]
	v_sub_f16_e32 v5, v31, v65
	v_pack_b32_f16 v1, v1, v2
	v_pack_b32_f16 v2, v3, v10
	scratch_load_b32 v3, off, off offset:308 th:TH_LOAD_LU ; 4-byte Folded Reload
	s_wait_loadcnt 0x0
	ds_store_2addr_b32 v3, v1, v2 offset1:3
	ds_store_b32 v3, v0 offset:24
	v_lshrrev_b32_e32 v0, 16, v6
	v_add_f16_e32 v2, v64, v66
	v_sub_f16_e32 v3, v64, v66
	s_delay_alu instid0(VALU_DEP_3) | instskip(NEXT) | instid1(VALU_DEP_3)
	v_add_f16_e32 v1, v0, v64
	v_fmac_f16_e32 v0, -0.5, v2
	v_add_f16_e32 v2, v6, v31
	s_delay_alu instid0(VALU_DEP_3) | instskip(NEXT) | instid1(VALU_DEP_2)
	v_add_f16_e32 v1, v1, v66
	v_add_f16_e32 v2, v2, v65
	s_delay_alu instid0(VALU_DEP_1) | instskip(SKIP_3) | instid1(VALU_DEP_3)
	v_pack_b32_f16 v1, v2, v1
	v_fma_f16 v2, -0.5, v4, v6
	v_fmamk_f16 v6, v5, 0x3aee, v0
	v_fmac_f16_e32 v0, 0xbaee, v5
	v_fmamk_f16 v4, v3, 0xbaee, v2
	v_fmac_f16_e32 v2, 0x3aee, v3
	s_delay_alu instid0(VALU_DEP_2)
	v_pack_b32_f16 v4, v4, v6
	scratch_load_b32 v6, off, off offset:312 th:TH_LOAD_LU ; 4-byte Folded Reload
	v_pack_b32_f16 v0, v2, v0
	v_add_f16_e32 v2, v7, v69
	s_wait_loadcnt 0x0
	ds_store_b32 v6, v0 offset:24
	v_add_f16_e32 v0, v69, v70
	ds_store_2addr_b32 v6, v1, v4 offset1:3
	v_lshrrev_b32_e32 v1, 16, v7
	v_fmac_f16_e32 v7, -0.5, v0
	v_sub_f16_e32 v0, v73, v74
	s_delay_alu instid0(VALU_DEP_3) | instskip(NEXT) | instid1(VALU_DEP_2)
	v_add_f16_e32 v4, v1, v73
	v_fmamk_f16 v3, v0, 0xbaee, v7
	v_fmac_f16_e32 v7, 0x3aee, v0
	v_add_f16_e32 v0, v73, v74
	s_delay_alu instid0(VALU_DEP_1) | instskip(SKIP_1) | instid1(VALU_DEP_1)
	v_fmac_f16_e32 v1, -0.5, v0
	v_sub_f16_e32 v0, v69, v70
	v_fmamk_f16 v5, v0, 0x3aee, v1
	v_fmac_f16_e32 v1, 0xbaee, v0
	s_delay_alu instid0(VALU_DEP_1) | instskip(SKIP_3) | instid1(VALU_DEP_2)
	v_pack_b32_f16 v0, v7, v1
	v_add_f16_e32 v1, v2, v70
	v_add_f16_e32 v2, v4, v74
	;; [unrolled: 1-line block ×3, first 2 shown]
	v_pack_b32_f16 v1, v1, v2
	v_pack_b32_f16 v2, v3, v5
	scratch_load_b32 v3, off, off offset:316 th:TH_LOAD_LU ; 4-byte Folded Reload
	s_wait_loadcnt 0x0
	ds_store_2addr_b32 v3, v1, v2 offset1:3
	ds_store_b32 v3, v0 offset:24
	v_lshrrev_b32_e32 v0, 16, v8
	v_add_f16_e32 v2, v76, v78
	v_sub_f16_e32 v3, v76, v78
	v_sub_f16_e32 v5, v75, v77
	s_delay_alu instid0(VALU_DEP_4) | instskip(NEXT) | instid1(VALU_DEP_4)
	v_add_f16_e32 v1, v0, v76
	v_fmac_f16_e32 v0, -0.5, v2
	v_add_f16_e32 v2, v8, v75
	s_delay_alu instid0(VALU_DEP_3) | instskip(NEXT) | instid1(VALU_DEP_3)
	v_add_f16_e32 v1, v1, v78
	v_fmamk_f16 v6, v5, 0x3aee, v0
	s_delay_alu instid0(VALU_DEP_3) | instskip(SKIP_1) | instid1(VALU_DEP_2)
	v_add_f16_e32 v2, v2, v77
	v_fmac_f16_e32 v0, 0xbaee, v5
	v_pack_b32_f16 v1, v2, v1
	v_fma_f16 v2, -0.5, v4, v8
	s_delay_alu instid0(VALU_DEP_1) | instskip(SKIP_1) | instid1(VALU_DEP_2)
	v_fmamk_f16 v4, v3, 0xbaee, v2
	v_fmac_f16_e32 v2, 0x3aee, v3
	v_pack_b32_f16 v4, v4, v6
	scratch_load_b32 v6, off, off offset:324 th:TH_LOAD_LU ; 4-byte Folded Reload
	v_pack_b32_f16 v0, v2, v0
	v_add_f16_e32 v2, v9, v71
	s_wait_loadcnt 0x0
	ds_store_b32 v6, v0 offset:24
	v_add_f16_e32 v0, v71, v72
	ds_store_2addr_b32 v6, v1, v4 offset1:3
	v_lshrrev_b32_e32 v1, 16, v9
	v_fmac_f16_e32 v9, -0.5, v0
	v_sub_f16_e32 v0, v67, v68
	s_delay_alu instid0(VALU_DEP_3) | instskip(NEXT) | instid1(VALU_DEP_2)
	v_add_f16_e32 v4, v1, v67
	v_fmamk_f16 v3, v0, 0xbaee, v9
	v_fmac_f16_e32 v9, 0x3aee, v0
	v_add_f16_e32 v0, v67, v68
	s_delay_alu instid0(VALU_DEP_1) | instskip(SKIP_1) | instid1(VALU_DEP_1)
	v_fmac_f16_e32 v1, -0.5, v0
	v_sub_f16_e32 v0, v71, v72
	v_fmamk_f16 v5, v0, 0x3aee, v1
	v_fmac_f16_e32 v1, 0xbaee, v0
	s_delay_alu instid0(VALU_DEP_1) | instskip(SKIP_2) | instid1(VALU_DEP_1)
	v_pack_b32_f16 v0, v9, v1
	v_add_f16_e32 v1, v2, v72
	v_add_f16_e32 v2, v4, v68
	v_pack_b32_f16 v1, v1, v2
	v_pack_b32_f16 v2, v3, v5
	scratch_load_b32 v3, off, off offset:320 th:TH_LOAD_LU ; 4-byte Folded Reload
	s_wait_loadcnt 0x0
	ds_store_2addr_b32 v3, v1, v2 offset1:3
	ds_store_b32 v3, v0 offset:24
	global_wb scope:SCOPE_SE
	s_wait_dscnt 0x0
	s_barrier_signal -1
	s_barrier_wait -1
	global_inv scope:SCOPE_SE
	ds_load_2addr_b32 v[65:66], v113 offset0:88 offset1:196
	s_wait_dscnt 0x0
	v_lshrrev_b32_e32 v0, 16, v66
	v_mul_f16_e32 v1, v98, v66
	s_delay_alu instid0(VALU_DEP_2) | instskip(NEXT) | instid1(VALU_DEP_2)
	v_mul_f16_e32 v72, v98, v0
	v_fma_f16 v73, v40, v0, -v1
	ds_load_2addr_b32 v[0:1], v114 offset0:136 offset1:244
	v_fmac_f16_e32 v72, v40, v66
	s_wait_dscnt 0x0
	v_lshrrev_b32_e32 v2, 16, v0
	v_mul_f16_e32 v3, v97, v0
	s_delay_alu instid0(VALU_DEP_2) | instskip(NEXT) | instid1(VALU_DEP_2)
	v_mul_f16_e32 v77, v97, v2
	v_fma_f16 v76, v41, v2, -v3
	ds_load_2addr_b32 v[2:3], v89 offset0:96 offset1:204
	v_fmac_f16_e32 v77, v41, v0
	;; [unrolled: 8-line block ×3, first 2 shown]
	v_lshrrev_b32_e32 v3, 16, v1
	v_add_f16_e32 v15, v73, v74
	s_delay_alu instid0(VALU_DEP_3) | instskip(NEXT) | instid1(VALU_DEP_3)
	v_add_f16_e32 v14, v72, v75
	v_mul_f16_e32 v68, v100, v3
	s_delay_alu instid0(VALU_DEP_1) | instskip(SKIP_3) | instid1(VALU_DEP_2)
	v_fmac_f16_e32 v68, v49, v1
	s_wait_dscnt 0x0
	v_lshrrev_b32_e32 v6, 16, v4
	v_mul_f16_e64 v7, v168, v4
	v_mul_f16_e64 v97, v168, v6
	s_delay_alu instid0(VALU_DEP_2) | instskip(SKIP_1) | instid1(VALU_DEP_3)
	v_fma_f16 v83, v43, v6, -v7
	v_lshrrev_b32_e32 v6, 16, v5
	v_fmac_f16_e32 v97, v43, v4
	v_mul_f16_e32 v4, v100, v1
	ds_load_2addr_b32 v[0:1], v197 offset0:48 offset1:156
	v_mul_f16_e32 v69, v117, v6
	v_fma_f16 v49, v49, v3, -v4
	ds_load_2addr_b32 v[3:4], v160 offset0:56 offset1:164
	v_fmac_f16_e32 v69, v51, v5
	v_mul_f16_e32 v5, v117, v5
	s_delay_alu instid0(VALU_DEP_1) | instskip(SKIP_4) | instid1(VALU_DEP_2)
	v_fma_f16 v51, v51, v6, -v5
	v_lshrrev_b32_e32 v5, 16, v226
	s_wait_dscnt 0x1
	v_lshrrev_b32_e32 v7, 16, v0
	v_mul_f16_e32 v8, v101, v0
	v_mul_f16_e32 v66, v101, v7
	s_wait_dscnt 0x0
	v_lshrrev_b32_e32 v6, 16, v4
	s_delay_alu instid0(VALU_DEP_3)
	v_fma_f16 v67, v48, v7, -v8
	v_lshrrev_b32_e32 v7, 16, v3
	v_mul_f16_e32 v8, v95, v3
	v_fmac_f16_e32 v66, v48, v0
	v_lshrrev_b32_e32 v0, 16, v1
	v_mul_f16_e64 v42, v158, v6
	v_mul_f16_e32 v71, v95, v7
	v_fma_f16 v70, v50, v7, -v8
	v_mul_f16_e64 v7, v158, v4
	v_mul_f16_e64 v40, v152, v0
	v_fmac_f16_e64 v42, v227, v4
	v_fmac_f16_e32 v71, v50, v3
	v_lshrrev_b32_e32 v3, 16, v2
	v_fma_f16 v43, v227, v6, -v7
	v_fmac_f16_e64 v40, v225, v1
	v_mul_f16_e64 v1, v152, v1
	v_lshrrev_b32_e32 v6, 16, v228
	v_mul_f16_e32 v41, v5, v3
	s_delay_alu instid0(VALU_DEP_3) | instskip(SKIP_3) | instid1(VALU_DEP_1)
	v_fma_f16 v4, v225, v0, -v1
	ds_load_2addr_b32 v[0:1], v112 offset0:104 offset1:212
	v_fmac_f16_e64 v41, v226, v2
	v_mul_f16_e32 v2, v5, v2
	v_fma_f16 v5, v226, v3, -v2
	s_wait_dscnt 0x0
	v_lshrrev_b32_e32 v2, 16, v0
	v_mul_f16_e32 v3, v6, v0
	s_delay_alu instid0(VALU_DEP_2) | instskip(NEXT) | instid1(VALU_DEP_2)
	v_mul_f16_e32 v48, v6, v2
	v_fma_f16 v6, v228, v2, -v3
	v_mul_f16_e64 v2, v243, v1
	s_delay_alu instid0(VALU_DEP_3) | instskip(SKIP_1) | instid1(VALU_DEP_1)
	v_fmac_f16_e64 v48, v228, v0
	v_lshrrev_b32_e32 v0, 16, v1
	v_mul_f16_e64 v93, v243, v0
	s_delay_alu instid0(VALU_DEP_4) | instskip(NEXT) | instid1(VALU_DEP_2)
	v_fma_f16 v89, v231, v0, -v2
	v_fmac_f16_e64 v93, v231, v1
	ds_load_2addr_b32 v[0:1], v136 offset0:24 offset1:132
	v_add_f16_e32 v15, v15, v89
	v_add_f16_e32 v14, v14, v93
	s_wait_dscnt 0x0
	v_lshrrev_b32_e32 v2, 16, v0
	v_mul_f16_e64 v3, v130, v0
	s_delay_alu instid0(VALU_DEP_2) | instskip(NEXT) | instid1(VALU_DEP_2)
	v_mul_f16_e64 v100, v130, v2
	v_fma_f16 v98, v232, v2, -v3
	ds_load_2addr_b32 v[2:3], v159 offset0:112 offset1:220
	v_fmac_f16_e64 v100, v232, v0
	v_sub_f16_e32 v18, v83, v98
	s_delay_alu instid0(VALU_DEP_2) | instskip(SKIP_3) | instid1(VALU_DEP_2)
	v_sub_f16_e32 v22, v97, v100
	s_wait_dscnt 0x0
	v_lshrrev_b32_e32 v7, 16, v3
	v_mul_f16_e64 v8, v242, v3
	v_mul_f16_e64 v95, v242, v7
	s_delay_alu instid0(VALU_DEP_2)
	v_fma_f16 v85, v233, v7, -v8
	ds_load_2addr_b32 v[7:8], v190 offset0:32 offset1:140
	v_fmac_f16_e64 v95, v233, v3
	v_lshrrev_b32_e32 v3, 16, v1
	v_sub_f16_e64 v136, v89, v85
	v_add_f16_e32 v15, v15, v85
	s_delay_alu instid0(VALU_DEP_4) | instskip(NEXT) | instid1(VALU_DEP_4)
	v_sub_f16_e32 v12, v93, v95
	v_mul_f16_e64 v79, v251, v3
	v_add_f16_e32 v14, v14, v95
	s_delay_alu instid0(VALU_DEP_2) | instskip(SKIP_3) | instid1(VALU_DEP_2)
	v_fmac_f16_e32 v79, v37, v1
	s_wait_dscnt 0x0
	v_lshrrev_b32_e32 v9, 16, v7
	v_mul_f16_e32 v10, v87, v7
	v_mul_f16_e32 v103, v87, v9
	s_delay_alu instid0(VALU_DEP_2) | instskip(SKIP_2) | instid1(VALU_DEP_4)
	v_fma_f16 v87, v234, v9, -v10
	v_lshrrev_b32_e32 v9, 16, v8
	v_mul_f16_e32 v10, v110, v8
	v_fmac_f16_e64 v103, v234, v7
	v_mul_f16_e64 v7, v251, v1
	ds_load_2addr_b32 v[0:1], v223 offset0:64 offset1:172
	v_mul_f16_e32 v82, v110, v9
	v_sub_f16_e32 v16, v76, v87
	v_sub_f16_e32 v20, v77, v103
	v_fma_f16 v50, v37, v3, -v7
	v_add_f16_e32 v28, v77, v103
	v_fmac_f16_e32 v82, v39, v8
	v_fma_f16 v39, v39, v9, -v10
	v_add_f16_e32 v30, v76, v87
	v_sub_f16_e32 v31, v98, v87
	s_wait_dscnt 0x0
	v_lshrrev_b32_e32 v8, 16, v0
	v_mul_f16_e64 v11, v246, v0
	s_delay_alu instid0(VALU_DEP_2) | instskip(NEXT) | instid1(VALU_DEP_2)
	v_mul_f16_e64 v81, v246, v8
	v_fma_f16 v78, v36, v8, -v11
	ds_load_2addr_b32 v[7:8], v147 offset0:72 offset1:180
	v_fmac_f16_e32 v81, v36, v0
	v_lshrrev_b32_e32 v0, 16, v1
	s_delay_alu instid0(VALU_DEP_1) | instskip(NEXT) | instid1(VALU_DEP_1)
	v_mul_f16_e64 v24, v254, v0
	v_fmac_f16_e64 v24, v198, v1
	v_mul_f16_e64 v1, v254, v1
	s_wait_dscnt 0x0
	v_lshrrev_b32_e32 v3, 16, v7
	v_mul_f16_e64 v11, v247, v7
	s_delay_alu instid0(VALU_DEP_3)
	v_fma_f16 v26, v198, v0, -v1
	ds_load_2addr_b32 v[0:1], v148 offset0:120 offset1:228
	v_lshrrev_b32_e32 v9, 16, v8
	v_mul_f16_e64 v84, v247, v3
	v_fma_f16 v80, v38, v3, -v11
	v_lshrrev_b32_e32 v3, 16, v2
	v_mul_f16_e64 v10, v253, v8
	v_mul_f16_e64 v25, v253, v9
	v_fmac_f16_e32 v84, v38, v7
	v_lshrrev_b32_e32 v7, 16, v199
	s_delay_alu instid0(VALU_DEP_4) | instskip(NEXT) | instid1(VALU_DEP_4)
	v_fma_f16 v36, v200, v9, -v10
	v_fmac_f16_e64 v25, v200, v8
	v_lshrrev_b32_e32 v8, 16, v201
	s_delay_alu instid0(VALU_DEP_4) | instskip(NEXT) | instid1(VALU_DEP_1)
	v_mul_f16_e32 v27, v7, v3
	v_fmac_f16_e64 v27, v199, v2
	v_mul_f16_e32 v2, v7, v2
	s_delay_alu instid0(VALU_DEP_1) | instskip(SKIP_3) | instid1(VALU_DEP_2)
	v_fma_f16 v7, v199, v3, -v2
	s_wait_dscnt 0x0
	v_lshrrev_b32_e32 v2, 16, v0
	v_mul_f16_e32 v3, v8, v0
	v_mul_f16_e32 v37, v8, v2
	s_delay_alu instid0(VALU_DEP_2) | instskip(SKIP_1) | instid1(VALU_DEP_3)
	v_fma_f16 v2, v201, v2, -v3
	v_mul_f16_e64 v3, v161, v1
	v_fmac_f16_e64 v37, v201, v0
	v_lshrrev_b32_e32 v0, 16, v1
	s_delay_alu instid0(VALU_DEP_1) | instskip(NEXT) | instid1(VALU_DEP_4)
	v_mul_f16_e64 v86, v161, v0
	v_fma_f16 v38, v154, v0, -v3
	v_sub_f16_e32 v0, v77, v97
	s_delay_alu instid0(VALU_DEP_3) | instskip(SKIP_1) | instid1(VALU_DEP_4)
	v_fmac_f16_e64 v86, v154, v1
	v_sub_f16_e32 v1, v103, v100
	v_sub_f16_e64 v154, v74, v38
	v_add_f16_e64 v180, v15, v38
	s_delay_alu instid0(VALU_DEP_4) | instskip(NEXT) | instid1(VALU_DEP_4)
	v_sub_f16_e32 v13, v75, v86
	v_add_f16_e32 v3, v0, v1
	v_sub_f16_e32 v0, v76, v83
	v_sub_f16_e32 v1, v87, v98
	v_add_f16_e64 v178, v14, v86
	s_delay_alu instid0(VALU_DEP_2) | instskip(SKIP_2) | instid1(VALU_DEP_1)
	v_add_f16_e32 v10, v0, v1
	v_sub_f16_e32 v0, v75, v93
	v_sub_f16_e32 v1, v86, v95
	v_add_f16_e32 v110, v0, v1
	v_sub_f16_e32 v0, v74, v89
	v_sub_f16_e32 v1, v38, v85
	s_delay_alu instid0(VALU_DEP_1) | instskip(SKIP_1) | instid1(VALU_DEP_1)
	v_add_f16_e32 v11, v0, v1
	v_add_f16_e32 v0, v93, v95
	v_fma_f16 v112, -0.5, v0, v72
	v_add_f16_e32 v0, v89, v85
	s_delay_alu instid0(VALU_DEP_2) | instskip(NEXT) | instid1(VALU_DEP_2)
	v_fma_f16 v1, 0xbb9c, v154, v112
	v_fma_f16 v117, -0.5, v0, v73
	v_fmac_f16_e64 v112, 0x3b9c, v154
	s_delay_alu instid0(VALU_DEP_3) | instskip(NEXT) | instid1(VALU_DEP_3)
	v_fmac_f16_e64 v1, 0xb8b4, v136
	v_fmamk_f16 v0, v13, 0x3b9c, v117
	v_fmac_f16_e32 v117, 0xbb9c, v13
	s_delay_alu instid0(VALU_DEP_4) | instskip(NEXT) | instid1(VALU_DEP_4)
	v_fmac_f16_e64 v112, 0x38b4, v136
	v_fmac_f16_e32 v1, 0x34f2, v110
	s_delay_alu instid0(VALU_DEP_4) | instskip(NEXT) | instid1(VALU_DEP_4)
	v_fmac_f16_e32 v0, 0x38b4, v12
	v_fmac_f16_e32 v117, 0xb8b4, v12
	s_delay_alu instid0(VALU_DEP_4) | instskip(NEXT) | instid1(VALU_DEP_3)
	v_fmac_f16_e32 v112, 0x34f2, v110
	v_fmac_f16_e32 v0, 0x34f2, v11
	s_delay_alu instid0(VALU_DEP_3) | instskip(NEXT) | instid1(VALU_DEP_2)
	v_fmac_f16_e32 v117, 0x34f2, v11
	v_mul_f16_e32 v101, 0xb8b4, v0
	v_mul_f16_e64 v161, 0x3a79, v0
	s_delay_alu instid0(VALU_DEP_2) | instskip(NEXT) | instid1(VALU_DEP_2)
	v_fmac_f16_e32 v101, 0x3a79, v1
	v_fmac_f16_e64 v161, 0x38b4, v1
	ds_load_2addr_b32 v[0:1], v151 offset1:108
	s_wait_dscnt 0x0
	v_lshrrev_b32_e32 v133, 16, v0
	v_add_f16_e32 v8, v0, v77
	s_delay_alu instid0(VALU_DEP_2) | instskip(NEXT) | instid1(VALU_DEP_2)
	v_add_f16_e64 v9, v133, v76
	v_add_f16_e32 v8, v8, v97
	s_delay_alu instid0(VALU_DEP_2) | instskip(NEXT) | instid1(VALU_DEP_2)
	v_add_f16_e32 v9, v9, v83
	v_add_f16_e32 v8, v8, v100
	s_delay_alu instid0(VALU_DEP_2) | instskip(NEXT) | instid1(VALU_DEP_2)
	v_add_f16_e32 v9, v9, v98
	v_add_f16_e64 v168, v8, v103
	s_delay_alu instid0(VALU_DEP_2) | instskip(NEXT) | instid1(VALU_DEP_2)
	v_add_f16_e64 v177, v9, v87
	v_add_f16_e64 v8, v168, v178
	v_sub_f16_e64 v11, v168, v178
	s_delay_alu instid0(VALU_DEP_3) | instskip(NEXT) | instid1(VALU_DEP_1)
	v_add_f16_e64 v9, v177, v180
	v_pack_b32_f16 v14, v8, v9
	v_add_f16_e32 v8, v97, v100
	s_delay_alu instid0(VALU_DEP_1) | instskip(SKIP_2) | instid1(VALU_DEP_3)
	v_fma_f16 v15, -0.5, v8, v0
	v_add_f16_e32 v8, v83, v98
	v_fma_f16 v0, -0.5, v28, v0
	v_fmamk_f16 v17, v16, 0xbb9c, v15
	s_delay_alu instid0(VALU_DEP_3) | instskip(NEXT) | instid1(VALU_DEP_3)
	v_fma_f16 v19, -0.5, v8, v133
	v_fmamk_f16 v28, v18, 0x3b9c, v0
	v_fmac_f16_e32 v0, 0xbb9c, v18
	v_fmac_f16_e64 v133, -0.5, v30
	v_fmac_f16_e32 v17, 0xb8b4, v18
	v_fmamk_f16 v21, v20, 0x3b9c, v19
	v_fmac_f16_e32 v28, 0xb8b4, v16
	v_fmac_f16_e32 v0, 0x38b4, v16
	v_add_f16_e32 v30, v75, v86
	v_fmac_f16_e32 v17, 0x34f2, v3
	v_fmac_f16_e32 v21, 0x38b4, v22
	v_fma_f16 v64, 0xbb9c, v22, v133
	v_fmac_f16_e64 v133, 0x3b9c, v22
	v_fmac_f16_e32 v72, -0.5, v30
	v_add_f16_e32 v8, v17, v101
	v_fmac_f16_e32 v21, 0x34f2, v10
	v_fmac_f16_e32 v64, 0x38b4, v20
	v_fmac_f16_e64 v133, 0xb8b4, v20
	v_sub_f16_e32 v30, v85, v38
	v_fmac_f16_e32 v15, 0x3b9c, v16
	v_add_f16_e64 v9, v21, v161
	v_fmac_f16_e32 v19, 0xbb9c, v20
	s_delay_alu instid0(VALU_DEP_3) | instskip(NEXT) | instid1(VALU_DEP_3)
	v_fmac_f16_e32 v15, 0x38b4, v18
	v_pack_b32_f16 v23, v8, v9
	ds_load_2addr_b32 v[8:9], v174 offset0:80 offset1:188
	global_wb scope:SCOPE_SE
	s_wait_dscnt 0x0
	s_barrier_signal -1
	s_barrier_wait -1
	global_inv scope:SCOPE_SE
	ds_store_2addr_b32 v213, v14, v23 offset1:9
	v_sub_f16_e32 v14, v97, v77
	v_sub_f16_e32 v23, v100, v103
	v_fmac_f16_e32 v19, 0xb8b4, v22
	v_fmac_f16_e32 v15, 0x34f2, v3
	v_mul_f16_e32 v3, 0xb8b4, v117
	v_add_f16_e32 v18, v67, v70
	v_add_f16_e32 v14, v14, v23
	v_sub_f16_e32 v23, v83, v76
	v_fmac_f16_e32 v19, 0x34f2, v10
	v_mul_f16_e32 v10, 0xba79, v117
	v_fmac_f16_e32 v3, 0xba79, v112
	v_fmac_f16_e32 v28, 0x34f2, v14
	;; [unrolled: 1-line block ×3, first 2 shown]
	v_add_f16_e32 v14, v23, v31
	v_sub_f16_e32 v23, v93, v75
	v_sub_f16_e32 v31, v95, v86
	v_fmac_f16_e32 v10, 0x38b4, v112
	v_sub_f16_e32 v22, v78, v80
	v_fmac_f16_e32 v64, 0x34f2, v14
	v_fmac_f16_e64 v133, 0x34f2, v14
	v_add_f16_e32 v14, v23, v31
	v_add_f16_e32 v23, v74, v38
	v_fma_f16 v31, 0x3b9c, v136, v72
	v_fmac_f16_e64 v72, 0xbb9c, v136
	v_add_f16_e32 v16, v19, v10
	v_sub_f16_e32 v10, v19, v10
	v_fmac_f16_e32 v73, -0.5, v23
	v_sub_f16_e32 v23, v89, v74
	v_fmac_f16_e64 v31, 0xb8b4, v154
	v_fmac_f16_e64 v72, 0x38b4, v154
	v_sub_f16_e32 v74, v39, v50
	v_add_f16_e32 v18, v18, v78
	s_delay_alu instid0(VALU_DEP_4) | instskip(NEXT) | instid1(VALU_DEP_4)
	v_fmac_f16_e32 v31, 0x34f2, v14
	v_fmac_f16_e32 v72, 0x34f2, v14
	v_add_f16_e32 v14, v23, v30
	v_fmamk_f16 v23, v12, 0xbb9c, v73
	v_fmac_f16_e32 v73, 0x3b9c, v12
	v_sub_f16_e64 v12, v177, v180
	v_add_f16_e32 v18, v18, v80
	s_delay_alu instid0(VALU_DEP_4) | instskip(NEXT) | instid1(VALU_DEP_4)
	v_fmac_f16_e32 v23, 0x38b4, v13
	v_fmac_f16_e32 v73, 0xb8b4, v13
	v_add_f16_e32 v13, v15, v3
	v_pack_b32_f16 v11, v11, v12
	v_sub_f16_e32 v3, v15, v3
	v_fmac_f16_e32 v23, 0x34f2, v14
	v_fmac_f16_e32 v73, 0x34f2, v14
	v_pack_b32_f16 v13, v13, v16
	v_add_f16_e32 v15, v66, v71
	v_pack_b32_f16 v3, v3, v10
	v_mul_f16_e32 v14, 0xbb9c, v23
	v_mul_f16_e32 v23, 0x34f2, v23
	;; [unrolled: 1-line block ×3, first 2 shown]
	ds_store_2addr_b32 v213, v13, v11 offset0:36 offset1:45
	v_sub_f16_e32 v11, v17, v101
	v_fmac_f16_e32 v14, 0x34f2, v31
	v_fmac_f16_e32 v23, 0x3b9c, v31
	v_mul_f16_e32 v31, 0xb4f2, v73
	v_sub_f16_e64 v13, v21, v161
	v_fmac_f16_e32 v30, 0xb4f2, v72
	v_add_f16_e32 v38, v28, v14
	v_sub_f16_e32 v12, v28, v14
	v_sub_f16_e32 v14, v64, v23
	v_fmac_f16_e32 v31, 0x3b9c, v72
	v_add_f16_e32 v72, v64, v23
	v_pack_b32_f16 v11, v11, v13
	v_lshrrev_b32_e32 v10, 16, v203
	v_pack_b32_f16 v12, v12, v14
	v_sub_f16_e32 v13, v79, v82
	v_pack_b32_f16 v38, v38, v72
	v_add_f16_e32 v72, v0, v30
	v_sub_f16_e32 v0, v0, v30
	ds_store_2addr_b32 v213, v11, v12 offset0:54 offset1:63
	v_sub_f16_e64 v11, v133, v31
	v_add_f16_e32 v12, v1, v68
	v_add_f16_e64 v73, v133, v31
	v_sub_f16_e32 v28, v81, v84
	v_sub_f16_e32 v21, v49, v39
	v_pack_b32_f16 v0, v0, v11
	v_lshrrev_b32_e32 v11, 16, v1
	v_pack_b32_f16 v72, v72, v73
	v_sub_f16_e32 v73, v82, v79
	v_add_f16_e32 v15, v15, v81
	ds_store_2addr_b32 v213, v0, v3 offset0:72 offset1:81
	v_lshrrev_b32_e32 v0, 16, v8
	v_mul_f16_e32 v3, v10, v8
	ds_store_2addr_b32 v213, v38, v72 offset0:18 offset1:27
	v_add_f16_e32 v15, v15, v84
	v_add_f16_e32 v12, v12, v69
	v_mul_f16_e32 v10, v10, v0
	v_fma_f16 v0, v203, v0, -v3
	v_add_f16_e32 v3, v69, v79
	s_delay_alu instid0(VALU_DEP_4) | instskip(NEXT) | instid1(VALU_DEP_4)
	v_add_f16_e32 v12, v12, v79
	v_fmac_f16_e64 v10, v203, v8
	v_add_f16_e32 v8, v68, v82
	s_delay_alu instid0(VALU_DEP_4)
	v_fma_f16 v3, -0.5, v3, v1
	v_add_f16_e32 v17, v70, v0
	v_sub_f16_e32 v19, v80, v0
	v_add_f16_e32 v14, v71, v10
	v_fmac_f16_e32 v1, -0.5, v8
	v_sub_f16_e32 v8, v69, v68
	v_sub_f16_e32 v16, v84, v10
	v_sub_f16_e32 v31, v71, v10
	v_sub_f16_e32 v38, v70, v0
	v_add_f16_e32 v12, v12, v82
	v_add_f16_e32 v8, v8, v13
	;; [unrolled: 1-line block ×3, first 2 shown]
	v_fmamk_f16 v77, v21, 0xbb9c, v3
	v_fmac_f16_e32 v3, 0x3b9c, v21
	s_delay_alu instid0(VALU_DEP_3) | instskip(SKIP_3) | instid1(VALU_DEP_3)
	v_fma_f16 v13, -0.5, v13, v66
	v_fmac_f16_e32 v66, -0.5, v14
	v_sub_f16_e32 v14, v81, v71
	v_sub_f16_e32 v71, v71, v81
	v_fmamk_f16 v23, v22, 0x3b9c, v66
	s_delay_alu instid0(VALU_DEP_3) | instskip(SKIP_2) | instid1(VALU_DEP_4)
	v_add_f16_e32 v14, v14, v16
	v_add_f16_e32 v16, v78, v80
	v_fmac_f16_e32 v66, 0xbb9c, v22
	v_fmac_f16_e32 v23, 0xb8b4, v38
	s_delay_alu instid0(VALU_DEP_3)
	v_fma_f16 v16, -0.5, v16, v67
	v_fmac_f16_e32 v67, -0.5, v17
	v_sub_f16_e32 v17, v78, v70
	v_fmac_f16_e32 v66, 0x38b4, v38
	v_sub_f16_e32 v70, v70, v78
	v_fmac_f16_e32 v23, 0x34f2, v14
	v_fmamk_f16 v30, v28, 0xbb9c, v67
	v_fmac_f16_e32 v67, 0x3b9c, v28
	v_add_f16_e32 v17, v17, v19
	v_sub_f16_e32 v19, v51, v50
	v_fmac_f16_e32 v66, 0x34f2, v14
	v_fmac_f16_e32 v30, 0x38b4, v31
	;; [unrolled: 1-line block ×3, first 2 shown]
	s_delay_alu instid0(VALU_DEP_4) | instskip(SKIP_2) | instid1(VALU_DEP_4)
	v_fmamk_f16 v20, v19, 0x3b9c, v1
	v_fmac_f16_e32 v1, 0xbb9c, v19
	v_fmac_f16_e32 v77, 0xb8b4, v19
	;; [unrolled: 1-line block ×7, first 2 shown]
	v_mul_f16_e32 v64, 0xbb9c, v67
	v_mul_f16_e32 v17, 0xb4f2, v67
	v_fmac_f16_e32 v20, 0x34f2, v8
	v_fmac_f16_e32 v1, 0x34f2, v8
	v_mul_f16_e32 v14, 0x34f2, v30
	v_fmac_f16_e32 v64, 0xb4f2, v66
	v_fmac_f16_e32 v17, 0x3b9c, v66
	v_sub_f16_e32 v19, v5, v2
	s_delay_alu instid0(VALU_DEP_4) | instskip(NEXT) | instid1(VALU_DEP_4)
	v_fmac_f16_e32 v14, 0x3b9c, v23
	v_add_f16_e32 v72, v1, v64
	v_sub_f16_e32 v1, v1, v64
	v_sub_f16_e32 v64, v68, v69
	v_sub_f16_e32 v68, v68, v82
	v_sub_f16_e32 v69, v69, v79
	s_delay_alu instid0(VALU_DEP_3) | instskip(SKIP_1) | instid1(VALU_DEP_2)
	v_add_f16_e32 v64, v64, v73
	v_sub_f16_e32 v73, v49, v51
	v_fmac_f16_e32 v77, 0x34f2, v64
	s_delay_alu instid0(VALU_DEP_2) | instskip(SKIP_3) | instid1(VALU_DEP_3)
	v_add_f16_e32 v73, v73, v74
	v_sub_f16_e32 v74, v10, v84
	v_add_f16_e32 v10, v15, v10
	v_fmac_f16_e32 v3, 0x34f2, v64
	v_add_f16_e32 v15, v71, v74
	v_sub_f16_e32 v71, v0, v80
	v_add_f16_e32 v0, v18, v0
	v_add_f16_e32 v75, v12, v10
	v_sub_f16_e32 v10, v12, v10
	s_delay_alu instid0(VALU_DEP_4) | instskip(SKIP_4) | instid1(VALU_DEP_4)
	v_add_f16_e32 v18, v70, v71
	v_fmamk_f16 v70, v31, 0x3b9c, v16
	v_fmamk_f16 v71, v38, 0xbb9c, v13
	v_fmac_f16_e32 v16, 0xbb9c, v31
	v_fmac_f16_e32 v13, 0x3b9c, v38
	;; [unrolled: 1-line block ×3, first 2 shown]
	s_delay_alu instid0(VALU_DEP_4) | instskip(NEXT) | instid1(VALU_DEP_4)
	v_fmac_f16_e32 v71, 0xb8b4, v22
	v_fmac_f16_e32 v16, 0xb8b4, v28
	s_delay_alu instid0(VALU_DEP_4)
	v_fmac_f16_e32 v13, 0x38b4, v22
	v_sub_f16_e32 v22, v24, v25
	v_fmac_f16_e32 v70, 0x34f2, v18
	v_fmac_f16_e32 v71, 0x34f2, v15
	;; [unrolled: 1-line block ×4, first 2 shown]
	s_delay_alu instid0(VALU_DEP_4) | instskip(SKIP_1) | instid1(VALU_DEP_4)
	v_mul_f16_e32 v74, 0xb8b4, v70
	v_mul_f16_e32 v70, 0x3a79, v70
	;; [unrolled: 1-line block ×4, first 2 shown]
	s_delay_alu instid0(VALU_DEP_4) | instskip(NEXT) | instid1(VALU_DEP_4)
	v_fmac_f16_e32 v74, 0x3a79, v71
	v_fmac_f16_e32 v70, 0x38b4, v71
	v_add_f16_e32 v71, v11, v49
	v_fmac_f16_e32 v15, 0xba79, v13
	v_fmac_f16_e32 v16, 0x38b4, v13
	v_add_f16_e32 v79, v77, v74
	s_delay_alu instid0(VALU_DEP_4) | instskip(NEXT) | instid1(VALU_DEP_4)
	v_add_f16_e32 v71, v71, v51
	v_add_f16_e32 v12, v3, v15
	s_delay_alu instid0(VALU_DEP_2) | instskip(NEXT) | instid1(VALU_DEP_1)
	v_add_f16_e32 v71, v71, v50
	v_add_f16_e32 v71, v71, v39
	s_delay_alu instid0(VALU_DEP_1) | instskip(SKIP_1) | instid1(VALU_DEP_2)
	v_add_f16_e32 v76, v71, v0
	v_sub_f16_e32 v0, v71, v0
	v_pack_b32_f16 v75, v75, v76
	v_add_f16_e32 v76, v51, v50
	s_delay_alu instid0(VALU_DEP_3) | instskip(NEXT) | instid1(VALU_DEP_2)
	v_pack_b32_f16 v0, v10, v0
	v_fma_f16 v76, -0.5, v76, v11
	s_delay_alu instid0(VALU_DEP_1) | instskip(SKIP_1) | instid1(VALU_DEP_2)
	v_fmamk_f16 v78, v68, 0x3b9c, v76
	v_fmac_f16_e32 v76, 0xbb9c, v68
	v_fmac_f16_e32 v78, 0x38b4, v69
	s_delay_alu instid0(VALU_DEP_2) | instskip(NEXT) | instid1(VALU_DEP_2)
	v_fmac_f16_e32 v76, 0xb8b4, v69
	v_fmac_f16_e32 v78, 0x34f2, v73
	s_delay_alu instid0(VALU_DEP_2) | instskip(NEXT) | instid1(VALU_DEP_2)
	v_fmac_f16_e32 v76, 0x34f2, v73
	v_add_f16_e32 v80, v78, v70
	s_delay_alu instid0(VALU_DEP_2) | instskip(SKIP_1) | instid1(VALU_DEP_3)
	v_add_f16_e32 v13, v76, v16
	v_sub_f16_e32 v10, v78, v70
	v_pack_b32_f16 v79, v79, v80
	s_delay_alu instid0(VALU_DEP_3)
	v_pack_b32_f16 v12, v12, v13
	v_add_f16_e32 v13, v40, v42
	ds_store_2addr_b32 v212, v75, v79 offset1:9
	v_add_f16_e32 v75, v49, v39
	v_sub_f16_e32 v49, v51, v49
	v_sub_f16_e32 v39, v50, v39
	ds_store_2addr_b32 v212, v12, v0 offset0:36 offset1:45
	v_sub_f16_e32 v0, v77, v74
	v_fmac_f16_e32 v11, -0.5, v75
	v_add_f16_e32 v13, v13, v24
	v_add_f16_e32 v8, v49, v39
	v_sub_f16_e32 v49, v37, v27
	v_pack_b32_f16 v0, v0, v10
	v_fmamk_f16 v39, v69, 0xbb9c, v11
	v_fmac_f16_e32 v11, 0x3b9c, v69
	v_add_f16_e32 v10, v65, v41
	v_add_f16_e32 v13, v13, v25
	s_delay_alu instid0(VALU_DEP_4) | instskip(NEXT) | instid1(VALU_DEP_4)
	v_fmac_f16_e32 v39, 0x38b4, v68
	v_fmac_f16_e32 v11, 0xb8b4, v68
	s_delay_alu instid0(VALU_DEP_4) | instskip(NEXT) | instid1(VALU_DEP_3)
	v_add_f16_e32 v10, v10, v48
	v_fmac_f16_e32 v39, 0x34f2, v8
	s_delay_alu instid0(VALU_DEP_3) | instskip(SKIP_1) | instid1(VALU_DEP_4)
	v_fmac_f16_e32 v11, 0x34f2, v8
	v_mul_f16_e32 v8, 0xbb9c, v30
	v_add_f16_e32 v10, v10, v27
	s_delay_alu instid0(VALU_DEP_4) | instskip(SKIP_1) | instid1(VALU_DEP_4)
	v_sub_f16_e32 v12, v39, v14
	v_add_f16_e32 v30, v39, v14
	v_fmac_f16_e32 v8, 0x34f2, v23
	s_delay_alu instid0(VALU_DEP_4) | instskip(SKIP_1) | instid1(VALU_DEP_3)
	v_add_f16_e32 v10, v10, v37
	v_sub_f16_e32 v39, v41, v48
	v_add_f16_e32 v23, v20, v8
	v_sub_f16_e32 v8, v20, v8
	v_sub_f16_e32 v20, v26, v36
	s_delay_alu instid0(VALU_DEP_4) | instskip(NEXT) | instid1(VALU_DEP_4)
	v_add_f16_e32 v39, v39, v49
	v_pack_b32_f16 v23, v23, v30
	s_delay_alu instid0(VALU_DEP_4)
	v_pack_b32_f16 v8, v8, v12
	v_add_f16_e32 v30, v11, v17
	ds_store_2addr_b32 v212, v0, v8 offset0:54 offset1:63
	v_sub_f16_e32 v0, v3, v15
	v_sub_f16_e32 v3, v11, v17
	;; [unrolled: 1-line block ×4, first 2 shown]
	v_add_f16_e32 v16, v4, v43
	v_pack_b32_f16 v30, v72, v30
	v_pack_b32_f16 v1, v1, v3
	;; [unrolled: 1-line block ×3, first 2 shown]
	v_lshrrev_b32_e32 v3, 16, v167
	v_add_f16_e32 v8, v41, v37
	v_add_f16_e32 v16, v16, v26
	ds_store_2addr_b32 v212, v23, v30 offset0:18 offset1:27
	ds_store_2addr_b32 v212, v1, v0 offset0:72 offset1:81
	v_lshrrev_b32_e32 v0, 16, v9
	v_sub_f16_e32 v37, v41, v37
	v_add_f16_e32 v16, v16, v36
	s_delay_alu instid0(VALU_DEP_3) | instskip(SKIP_1) | instid1(VALU_DEP_2)
	v_mul_f16_e32 v1, v3, v0
	v_mul_f16_e32 v3, v3, v9
	v_fmac_f16_e64 v1, v167, v9
	s_delay_alu instid0(VALU_DEP_2)
	v_fma_f16 v0, v167, v0, -v3
	v_add_f16_e32 v3, v48, v27
	v_lshrrev_b32_e32 v9, 16, v65
	v_sub_f16_e32 v27, v48, v27
	v_add_f16_e32 v12, v42, v1
	v_sub_f16_e32 v14, v25, v1
	v_fma_f16 v3, -0.5, v3, v65
	v_fmac_f16_e32 v65, -0.5, v8
	v_sub_f16_e32 v8, v48, v41
	v_sub_f16_e32 v28, v42, v1
	v_add_f16_e32 v15, v43, v0
	v_sub_f16_e32 v17, v36, v0
	v_sub_f16_e32 v30, v43, v0
	v_add_f16_e32 v8, v8, v11
	v_add_f16_e32 v11, v24, v25
	v_sub_f16_e32 v25, v1, v25
	v_add_f16_e32 v1, v13, v1
	v_sub_f16_e32 v41, v5, v6
	v_sub_f16_e32 v48, v2, v7
	v_fma_f16 v11, -0.5, v11, v40
	v_fmac_f16_e32 v40, -0.5, v12
	v_sub_f16_e32 v12, v24, v42
	v_sub_f16_e32 v24, v42, v24
	v_add_f16_e32 v41, v41, v48
	s_delay_alu instid0(VALU_DEP_4) | instskip(NEXT) | instid1(VALU_DEP_4)
	v_fmamk_f16 v21, v20, 0x3b9c, v40
	v_add_f16_e32 v12, v12, v14
	v_add_f16_e32 v14, v26, v36
	;; [unrolled: 1-line block ×3, first 2 shown]
	v_sub_f16_e32 v24, v43, v26
	v_sub_f16_e32 v25, v0, v36
	v_add_f16_e32 v0, v16, v0
	v_fma_f16 v14, -0.5, v14, v4
	v_fmac_f16_e32 v4, -0.5, v15
	v_sub_f16_e32 v15, v26, v43
	v_add_f16_e32 v16, v24, v25
	v_fmamk_f16 v25, v30, 0xbb9c, v11
	v_fmamk_f16 v24, v28, 0x3b9c, v14
	v_add_f16_e32 v36, v10, v1
	v_add_f16_e32 v15, v15, v17
	v_sub_f16_e32 v17, v6, v7
	v_fmac_f16_e32 v25, 0xb8b4, v20
	v_fmac_f16_e32 v24, 0x38b4, v22
	v_fmamk_f16 v43, v19, 0xbb9c, v3
	v_fmamk_f16 v23, v22, 0xbb9c, v4
	v_fmac_f16_e32 v4, 0x3b9c, v22
	v_fmac_f16_e32 v25, 0x34f2, v13
	;; [unrolled: 1-line block ×5, first 2 shown]
	v_fmamk_f16 v18, v17, 0x3b9c, v65
	v_fmac_f16_e32 v40, 0xbb9c, v20
	v_mul_f16_e32 v26, 0xb8b4, v24
	v_mul_f16_e32 v24, 0x3a79, v24
	v_fmac_f16_e32 v43, 0x34f2, v39
	v_fmac_f16_e32 v4, 0xb8b4, v28
	;; [unrolled: 1-line block ×5, first 2 shown]
	v_add_f16_e32 v25, v9, v5
	v_fmac_f16_e32 v21, 0xb8b4, v30
	v_fmac_f16_e32 v65, 0xbb9c, v17
	v_add_f16_e32 v49, v43, v26
	v_fmac_f16_e32 v40, 0x38b4, v30
	v_add_f16_e32 v25, v25, v6
	v_fmac_f16_e32 v4, 0x34f2, v15
	v_fmac_f16_e32 v18, 0xb8b4, v19
	;; [unrolled: 1-line block ×4, first 2 shown]
	v_add_f16_e32 v25, v25, v7
	v_fmac_f16_e32 v40, 0x34f2, v12
	v_mul_f16_e32 v31, 0xbb9c, v4
	v_fmac_f16_e32 v18, 0x34f2, v8
	v_mul_f16_e32 v4, 0xb4f2, v4
	v_add_f16_e32 v25, v25, v2
	v_fmac_f16_e32 v65, 0x34f2, v8
	v_fmac_f16_e32 v31, 0xb4f2, v40
	;; [unrolled: 1-line block ×4, first 2 shown]
	v_add_f16_e32 v42, v25, v0
	v_fmac_f16_e32 v11, 0x3b9c, v30
	v_add_f16_e32 v38, v65, v31
	v_fmac_f16_e32 v14, 0xb8b4, v22
	v_fmac_f16_e32 v3, 0x3b9c, v19
	v_pack_b32_f16 v36, v36, v42
	v_add_f16_e32 v42, v6, v7
	v_fmac_f16_e32 v11, 0x38b4, v20
	v_fmac_f16_e32 v14, 0x34f2, v16
	;; [unrolled: 1-line block ×3, first 2 shown]
	v_sub_f16_e32 v1, v10, v1
	v_fma_f16 v42, -0.5, v42, v9
	v_fmac_f16_e32 v11, 0x34f2, v13
	v_sub_f16_e32 v0, v25, v0
	v_fmac_f16_e32 v3, 0x34f2, v39
	v_sub_f16_e32 v31, v65, v31
	v_fmamk_f16 v48, v37, 0x3b9c, v42
	v_fmac_f16_e32 v42, 0xbb9c, v37
	v_pack_b32_f16 v0, v1, v0
	s_delay_alu instid0(VALU_DEP_3) | instskip(NEXT) | instid1(VALU_DEP_3)
	v_fmac_f16_e32 v48, 0x38b4, v27
	v_fmac_f16_e32 v42, 0xb8b4, v27
	s_delay_alu instid0(VALU_DEP_2) | instskip(NEXT) | instid1(VALU_DEP_2)
	v_fmac_f16_e32 v48, 0x34f2, v41
	v_fmac_f16_e32 v42, 0x34f2, v41
	s_delay_alu instid0(VALU_DEP_2) | instskip(NEXT) | instid1(VALU_DEP_1)
	v_add_f16_e32 v50, v48, v24
	v_pack_b32_f16 v49, v49, v50
	ds_store_2addr_b32 v211, v36, v49 offset1:9
	v_add_f16_e32 v36, v5, v2
	v_sub_f16_e32 v5, v6, v5
	v_sub_f16_e32 v2, v7, v2
	v_mul_f16_e32 v6, 0x34f2, v23
	s_delay_alu instid0(VALU_DEP_4) | instskip(NEXT) | instid1(VALU_DEP_3)
	v_fmac_f16_e32 v9, -0.5, v36
	v_add_f16_e32 v2, v5, v2
	s_delay_alu instid0(VALU_DEP_3) | instskip(NEXT) | instid1(VALU_DEP_3)
	v_fmac_f16_e32 v6, 0x3b9c, v21
	v_fmamk_f16 v5, v27, 0xbb9c, v9
	v_fmac_f16_e32 v9, 0x3b9c, v27
	s_delay_alu instid0(VALU_DEP_2) | instskip(NEXT) | instid1(VALU_DEP_2)
	v_fmac_f16_e32 v5, 0x38b4, v37
	v_fmac_f16_e32 v9, 0xb8b4, v37
	s_delay_alu instid0(VALU_DEP_2) | instskip(NEXT) | instid1(VALU_DEP_2)
	v_fmac_f16_e32 v5, 0x34f2, v2
	v_fmac_f16_e32 v9, 0x34f2, v2
	v_mul_f16_e32 v2, 0xbb9c, v23
	s_delay_alu instid0(VALU_DEP_3) | instskip(SKIP_1) | instid1(VALU_DEP_3)
	v_add_f16_e32 v8, v5, v6
	v_sub_f16_e32 v5, v5, v6
	v_fmac_f16_e32 v2, 0x34f2, v21
	s_delay_alu instid0(VALU_DEP_1) | instskip(SKIP_2) | instid1(VALU_DEP_3)
	v_add_f16_e32 v7, v18, v2
	v_sub_f16_e32 v1, v18, v2
	v_sub_f16_e32 v2, v48, v24
	v_pack_b32_f16 v7, v7, v8
	v_add_f16_e32 v8, v9, v4
	s_delay_alu instid0(VALU_DEP_4) | instskip(NEXT) | instid1(VALU_DEP_2)
	v_pack_b32_f16 v1, v1, v5
	v_pack_b32_f16 v8, v38, v8
	ds_store_2addr_b32 v211, v7, v8 offset0:18 offset1:27
	v_mul_f16_e32 v7, 0xb8b4, v14
	v_mul_f16_e32 v8, 0xba79, v14
	s_delay_alu instid0(VALU_DEP_2) | instskip(NEXT) | instid1(VALU_DEP_2)
	v_fmac_f16_e32 v7, 0xba79, v11
	v_fmac_f16_e32 v8, 0x38b4, v11
	s_delay_alu instid0(VALU_DEP_2) | instskip(NEXT) | instid1(VALU_DEP_2)
	v_add_f16_e32 v10, v3, v7
	v_add_f16_e32 v11, v42, v8
	s_delay_alu instid0(VALU_DEP_1) | instskip(SKIP_2) | instid1(VALU_DEP_1)
	v_pack_b32_f16 v10, v10, v11
	ds_store_2addr_b32 v211, v10, v0 offset0:36 offset1:45
	v_sub_f16_e32 v0, v43, v26
	v_pack_b32_f16 v0, v0, v2
	v_sub_f16_e32 v2, v42, v8
	ds_store_2addr_b32 v211, v0, v1 offset0:54 offset1:63
	v_sub_f16_e32 v0, v3, v7
	v_sub_f16_e32 v1, v9, v4
	s_delay_alu instid0(VALU_DEP_2) | instskip(NEXT) | instid1(VALU_DEP_2)
	v_pack_b32_f16 v0, v0, v2
	v_pack_b32_f16 v1, v31, v1
	ds_store_2addr_b32 v211, v1, v0 offset0:72 offset1:81
	global_wb scope:SCOPE_SE
	s_wait_dscnt 0x0
	s_barrier_signal -1
	s_barrier_wait -1
	global_inv scope:SCOPE_SE
	ds_load_2addr_b32 v[0:1], v197 offset0:48 offset1:156
	s_wait_dscnt 0x0
	v_lshrrev_b32_e32 v2, 16, v1
	v_mul_f16_e64 v3, v156, v1
	s_delay_alu instid0(VALU_DEP_2) | instskip(NEXT) | instid1(VALU_DEP_2)
	v_mul_f16_e64 v38, v156, v2
	v_fma_f16 v39, v162, v2, -v3
	ds_load_2addr_b32 v[2:3], v160 offset0:56 offset1:164
	v_fmac_f16_e64 v38, v162, v1
	s_wait_dscnt 0x0
	v_lshrrev_b32_e32 v4, 16, v2
	v_mul_f16_e64 v5, v132, v2
	s_delay_alu instid0(VALU_DEP_2) | instskip(NEXT) | instid1(VALU_DEP_2)
	v_mul_f16_e64 v11, v132, v4
	v_fma_f16 v12, v163, v4, -v5
	ds_load_2addr_b32 v[4:5], v149 offset0:104 offset1:212
	v_fmac_f16_e64 v11, v163, v2
	ds_load_2addr_b32 v[1:2], v114 offset0:136 offset1:244
	s_wait_dscnt 0x1
	v_lshrrev_b32_e32 v6, 16, v5
	v_mul_f16_e64 v7, v146, v5
	s_delay_alu instid0(VALU_DEP_2) | instskip(NEXT) | instid1(VALU_DEP_2)
	v_mul_f16_e64 v13, v146, v6
	v_fma_f16 v14, v164, v6, -v7
	ds_load_2addr_b32 v[6:7], v159 offset0:112 offset1:220
	v_fmac_f16_e64 v13, v164, v5
	v_lshrrev_b32_e32 v5, 16, v3
	s_delay_alu instid0(VALU_DEP_1) | instskip(NEXT) | instid1(VALU_DEP_1)
	v_mul_f16_e64 v41, v157, v5
	v_fmac_f16_e64 v41, v142, v3
	v_mul_f16_e64 v3, v157, v3
	s_wait_dscnt 0x0
	v_lshrrev_b32_e32 v8, 16, v6
	v_mul_f16_e32 v9, v126, v6
	s_delay_alu instid0(VALU_DEP_3) | instskip(NEXT) | instid1(VALU_DEP_3)
	v_fma_f16 v50, v142, v5, -v3
	v_mul_f16_e32 v15, v126, v8
	s_delay_alu instid0(VALU_DEP_3) | instskip(SKIP_2) | instid1(VALU_DEP_4)
	v_fma_f16 v28, v165, v8, -v9
	v_mul_f16_e64 v9, v236, v1
	v_lshrrev_b32_e32 v8, 16, v7
	v_fmac_f16_e64 v15, v165, v6
	v_lshrrev_b32_e32 v6, 16, v1
	s_delay_alu instid0(VALU_DEP_3) | instskip(NEXT) | instid1(VALU_DEP_2)
	v_mul_f16_e64 v43, v204, v8
	v_mul_f16_e64 v36, v236, v6
	v_fma_f16 v37, v141, v6, -v9
	ds_load_2addr_b32 v[5:6], v223 offset0:64 offset1:172
	v_fmac_f16_e64 v43, v144, v7
	v_mul_f16_e64 v7, v204, v7
	v_fmac_f16_e64 v36, v141, v1
	v_lshrrev_b32_e32 v1, 16, v2
	s_delay_alu instid0(VALU_DEP_3) | instskip(NEXT) | instid1(VALU_DEP_2)
	v_fma_f16 v65, v144, v8, -v7
	v_mul_f16_e32 v17, v116, v1
	s_delay_alu instid0(VALU_DEP_1) | instskip(SKIP_1) | instid1(VALU_DEP_1)
	v_fmac_f16_e32 v17, v32, v2
	v_mul_f16_e32 v2, v116, v2
	v_fma_f16 v20, v32, v1, -v2
	ds_load_2addr_b32 v[1:2], v111 offset0:16 offset1:124
	s_wait_dscnt 0x1
	v_lshrrev_b32_e32 v3, 16, v5
	v_mul_f16_e64 v9, v137, v5
	s_delay_alu instid0(VALU_DEP_2) | instskip(NEXT) | instid1(VALU_DEP_2)
	v_mul_f16_e64 v51, v137, v3
	v_fma_f16 v64, v143, v3, -v9
	v_lshrrev_b32_e32 v3, 16, v6
	s_delay_alu instid0(VALU_DEP_3) | instskip(SKIP_1) | instid1(VALU_DEP_3)
	v_fmac_f16_e64 v51, v143, v5
	v_mul_f16_e32 v5, v96, v6
	v_mul_f16_e32 v25, v96, v3
	s_delay_alu instid0(VALU_DEP_2) | instskip(NEXT) | instid1(VALU_DEP_2)
	v_fma_f16 v27, v34, v3, -v5
	v_fmac_f16_e32 v25, v34, v6
	s_wait_dscnt 0x0
	v_lshrrev_b32_e32 v6, 16, v1
	v_mul_f16_e32 v7, v118, v1
	s_delay_alu instid0(VALU_DEP_2) | instskip(NEXT) | instid1(VALU_DEP_2)
	v_mul_f16_e32 v32, v118, v6
	v_fma_f16 v40, v33, v6, -v7
	ds_load_2addr_b32 v[5:6], v147 offset0:72 offset1:180
	v_fmac_f16_e32 v32, v33, v1
	s_wait_dscnt 0x0
	v_lshrrev_b32_e32 v3, 16, v5
	v_mul_f16_e32 v7, v119, v5
	v_mul_f16_e32 v8, v104, v6
	s_delay_alu instid0(VALU_DEP_3) | instskip(NEXT) | instid1(VALU_DEP_3)
	v_mul_f16_e32 v34, v119, v3
	v_fma_f16 v42, v35, v3, -v7
	v_lshrrev_b32_e32 v3, 16, v2
	v_lshrrev_b32_e32 v7, 16, v6
	s_delay_alu instid0(VALU_DEP_4) | instskip(SKIP_1) | instid1(VALU_DEP_4)
	v_fmac_f16_e32 v34, v35, v5
	v_mul_f16_e32 v5, v99, v2
	v_mul_f16_e32 v19, v99, v3
	s_delay_alu instid0(VALU_DEP_4)
	v_mul_f16_e32 v21, v104, v7
	v_fma_f16 v26, v125, v7, -v8
	v_lshrrev_b32_e32 v7, 16, v4
	v_fma_f16 v24, v123, v3, -v5
	v_fmac_f16_e32 v19, v123, v2
	ds_load_2addr_b32 v[1:2], v134 offset0:96 offset1:204
	v_fmac_f16_e32 v21, v125, v6
	v_mul_f16_e64 v8, v221, v4
	v_add_f16_e32 v35, v12, v28
	s_wait_dscnt 0x0
	v_lshrrev_b32_e32 v6, 16, v1
	v_mul_f16_e32 v9, v29, v1
	s_delay_alu instid0(VALU_DEP_2) | instskip(NEXT) | instid1(VALU_DEP_2)
	v_mul_f16_e32 v16, v29, v6
	v_fma_f16 v18, v122, v6, -v9
	ds_load_2addr_b32 v[5:6], v145 offset0:24 offset1:132
	v_fmac_f16_e32 v16, v122, v1
	s_wait_dscnt 0x0
	v_lshrrev_b32_e32 v3, 16, v5
	v_mul_f16_e32 v9, v91, v5
	v_mul_f16_e64 v10, v255, v6
	s_delay_alu instid0(VALU_DEP_3) | instskip(NEXT) | instid1(VALU_DEP_3)
	v_mul_f16_e32 v23, v91, v3
	v_fma_f16 v22, v124, v3, -v9
	v_mul_f16_e64 v3, v221, v7
	v_lshrrev_b32_e32 v9, 16, v6
	s_delay_alu instid0(VALU_DEP_4) | instskip(SKIP_1) | instid1(VALU_DEP_4)
	v_fmac_f16_e32 v23, v124, v5
	v_lshrrev_b32_e32 v5, 16, v2
	v_fmac_f16_e64 v3, v239, v4
	s_delay_alu instid0(VALU_DEP_4) | instskip(NEXT) | instid1(VALU_DEP_3)
	v_mul_f16_e64 v4, v255, v9
	v_mul_f16_e64 v1, v183, v5
	s_delay_alu instid0(VALU_DEP_2) | instskip(SKIP_2) | instid1(VALU_DEP_4)
	v_fmac_f16_e64 v4, v240, v6
	v_fma_f16 v6, v239, v7, -v8
	v_lshrrev_b32_e32 v8, 16, v241
	v_fmac_f16_e64 v1, v238, v2
	v_mul_f16_e64 v2, v183, v2
	s_delay_alu instid0(VALU_DEP_1)
	v_fma_f16 v2, v238, v5, -v2
	v_fma_f16 v5, v240, v9, -v10
	ds_load_2addr_b32 v[9:10], v190 offset0:32 offset1:140
	s_wait_dscnt 0x0
	v_lshrrev_b32_e32 v7, 16, v9
	v_mul_f16_e32 v29, v8, v9
	v_mul_f16_e64 v30, v150, v10
	s_delay_alu instid0(VALU_DEP_3) | instskip(NEXT) | instid1(VALU_DEP_3)
	v_mul_f16_e32 v8, v8, v7
	v_fma_f16 v7, v241, v7, -v29
	s_delay_alu instid0(VALU_DEP_2) | instskip(SKIP_1) | instid1(VALU_DEP_1)
	v_fmac_f16_e64 v8, v241, v9
	v_lshrrev_b32_e32 v9, 16, v10
	v_mul_f16_e64 v29, v150, v9
	v_fma_f16 v30, v155, v9, -v30
	s_delay_alu instid0(VALU_DEP_2) | instskip(SKIP_4) | instid1(VALU_DEP_1)
	v_fmac_f16_e64 v29, v155, v10
	ds_load_2addr_b32 v[9:10], v151 offset1:108
	v_add_f16_e32 v48, v13, v29
	s_wait_dscnt 0x0
	v_lshrrev_b32_e32 v33, 16, v9
	v_add_f16_e32 v31, v33, v12
	v_sub_f16_e32 v12, v12, v28
	v_fmac_f16_e32 v33, -0.5, v35
	s_delay_alu instid0(VALU_DEP_3) | instskip(SKIP_2) | instid1(VALU_DEP_2)
	v_add_f16_e32 v66, v31, v28
	v_add_f16_e32 v28, v9, v11
	;; [unrolled: 1-line block ×5, first 2 shown]
	v_sub_f16_e32 v11, v11, v15
	v_add_f16_e32 v15, v14, v30
	v_sub_f16_e32 v14, v14, v30
	v_add_f16_e32 v67, v31, v30
	v_fma_f16 v9, -0.5, v28, v9
	v_fmamk_f16 v72, v11, 0x3aee, v33
	v_fmac_f16_e32 v39, -0.5, v15
	v_add_f16_e32 v15, v38, v13
	v_sub_f16_e32 v13, v13, v29
	v_fmac_f16_e32 v38, -0.5, v48
	v_add_f16_e32 v30, v66, v67
	v_fmamk_f16 v71, v12, 0xbaee, v9
	v_add_f16_e32 v15, v15, v29
	v_fmamk_f16 v29, v13, 0x3aee, v39
	v_fmac_f16_e32 v39, 0xbaee, v13
	v_fmac_f16_e32 v9, 0x3aee, v12
	v_fmac_f16_e32 v33, 0xbaee, v11
	v_sub_f16_e32 v13, v35, v15
	v_mul_f16_e32 v68, 0xbaee, v29
	v_mul_f16_e32 v69, 0.5, v29
	v_fmamk_f16 v29, v14, 0xbaee, v38
	v_fmac_f16_e32 v38, 0x3aee, v14
	v_mul_f16_e32 v11, 0xbaee, v39
	v_mul_f16_e32 v12, -0.5, v39
	v_sub_f16_e32 v14, v66, v67
	v_fmac_f16_e32 v68, 0.5, v29
	v_fmac_f16_e32 v69, 0x3aee, v29
	v_add_f16_e32 v29, v35, v15
	v_fmac_f16_e32 v11, -0.5, v38
	v_fmac_f16_e32 v12, 0x3aee, v38
	v_add_f16_e32 v28, v71, v68
	v_pack_b32_f16 v13, v13, v14
	v_pack_b32_f16 v70, v29, v30
	v_add_f16_e32 v29, v72, v69
	v_add_f16_e32 v15, v9, v11
	;; [unrolled: 1-line block ×3, first 2 shown]
	v_sub_f16_e32 v9, v9, v11
	v_sub_f16_e32 v12, v33, v12
	v_pack_b32_f16 v73, v28, v29
	ds_load_2addr_b32 v[28:29], v148 offset0:120 offset1:228
	ds_load_2addr_b32 v[30:31], v113 offset0:88 offset1:196
	;; [unrolled: 1-line block ×3, first 2 shown]
	global_wb scope:SCOPE_SE
	s_wait_dscnt 0x0
	s_barrier_signal -1
	s_barrier_wait -1
	global_inv scope:SCOPE_SE
	scratch_load_b32 v14, off, off offset:348 th:TH_LOAD_LU ; 4-byte Folded Reload
	v_pack_b32_f16 v9, v9, v12
	scratch_load_b32 v12, off, off offset:352 th:TH_LOAD_LU ; 4-byte Folded Reload
	v_pack_b32_f16 v15, v15, v35
	v_sub_f16_e32 v11, v72, v69
	v_add_f16_e32 v35, v37, v64
	ds_store_2addr_b32 v210, v70, v73 offset1:90
	s_wait_loadcnt 0x1
	ds_store_2addr_b32 v14, v15, v13 offset0:52 offset1:142
	v_sub_f16_e32 v13, v71, v68
	v_add_f16_e32 v14, v10, v41
	v_add_f16_e32 v15, v50, v65
	s_delay_alu instid0(VALU_DEP_3) | instskip(SKIP_1) | instid1(VALU_DEP_4)
	v_pack_b32_f16 v11, v13, v11
	v_lshrrev_b32_e32 v13, 16, v10
	v_add_f16_e32 v14, v14, v43
	s_wait_loadcnt 0x0
	ds_store_2addr_b32 v12, v11, v9 offset0:104 offset1:194
	v_lshrrev_b32_e32 v9, 16, v28
	v_mul_f16_e64 v11, v224, v28
	s_delay_alu instid0(VALU_DEP_2) | instskip(NEXT) | instid1(VALU_DEP_2)
	v_mul_f16_e64 v12, v224, v9
	v_fma_f16 v9, v216, v9, -v11
	v_add_f16_e32 v11, v41, v43
	s_delay_alu instid0(VALU_DEP_3) | instskip(NEXT) | instid1(VALU_DEP_3)
	v_fmac_f16_e64 v12, v216, v28
	v_add_f16_e32 v33, v64, v9
	s_delay_alu instid0(VALU_DEP_3)
	v_fmac_f16_e32 v10, -0.5, v11
	v_add_f16_e32 v11, v13, v50
	v_fmac_f16_e32 v13, -0.5, v15
	v_add_f16_e32 v38, v51, v12
	;; [unrolled: 2-line block ×3, first 2 shown]
	v_sub_f16_e32 v39, v51, v12
	v_add_f16_e32 v11, v11, v65
	v_fmac_f16_e32 v36, -0.5, v38
	v_sub_f16_e32 v15, v41, v43
	v_add_f16_e32 v12, v33, v12
	v_sub_f16_e32 v33, v64, v9
	v_add_f16_e32 v9, v35, v9
	v_fmamk_f16 v35, v39, 0x3aee, v37
	v_sub_f16_e32 v28, v50, v65
	v_fmac_f16_e32 v37, 0xbaee, v39
	v_fmamk_f16 v41, v33, 0xbaee, v36
	v_add_f16_e32 v43, v11, v9
	v_mul_f16_e32 v38, 0xbaee, v35
	v_mul_f16_e32 v35, 0.5, v35
	v_sub_f16_e32 v9, v11, v9
	v_fmamk_f16 v50, v15, 0x3aee, v13
	v_fmac_f16_e32 v13, 0xbaee, v15
	v_fmac_f16_e32 v38, 0.5, v41
	v_fmac_f16_e32 v35, 0x3aee, v41
	v_add_f16_e32 v41, v14, v12
	v_sub_f16_e32 v12, v14, v12
	v_fmac_f16_e32 v36, 0x3aee, v33
	v_mul_f16_e32 v15, 0xbaee, v37
	v_add_f16_e32 v64, v50, v35
	v_pack_b32_f16 v41, v41, v43
	v_pack_b32_f16 v9, v12, v9
	scratch_load_b32 v12, off, off offset:336 th:TH_LOAD_LU ; 4-byte Folded Reload
	v_fmamk_f16 v43, v28, 0xbaee, v10
	v_fmac_f16_e32 v10, 0x3aee, v28
	v_mul_f16_e32 v28, -0.5, v37
	v_fmac_f16_e32 v15, -0.5, v36
	s_delay_alu instid0(VALU_DEP_4) | instskip(NEXT) | instid1(VALU_DEP_3)
	v_add_f16_e32 v51, v43, v38
	v_fmac_f16_e32 v28, 0x3aee, v36
	s_delay_alu instid0(VALU_DEP_3) | instskip(NEXT) | instid1(VALU_DEP_3)
	v_add_f16_e32 v11, v10, v15
	v_pack_b32_f16 v51, v51, v64
	s_delay_alu instid0(VALU_DEP_3)
	v_add_f16_e32 v14, v13, v28
	ds_store_2addr_b32 v202, v41, v51 offset1:90
	v_pack_b32_f16 v11, v11, v14
	v_sub_f16_e32 v14, v40, v42
	s_wait_loadcnt 0x0
	ds_store_2addr_b32 v12, v11, v9 offset0:52 offset1:142
	v_sub_f16_e32 v9, v10, v15
	v_sub_f16_e32 v10, v43, v38
	v_sub_f16_e32 v11, v50, v35
	v_sub_f16_e32 v12, v13, v28
	v_add_f16_e32 v13, v40, v42
	v_add_f16_e32 v15, v32, v34
	v_sub_f16_e32 v28, v32, v34
	v_pack_b32_f16 v10, v10, v11
	scratch_load_b32 v11, off, off offset:340 th:TH_LOAD_LU ; 4-byte Folded Reload
	v_pack_b32_f16 v9, v9, v12
	v_fma_f16 v15, -0.5, v15, v30
	v_lshrrev_b32_e32 v50, 16, v191
	s_wait_loadcnt 0x0
	ds_store_2addr_b32 v11, v10, v9 offset0:104 offset1:194
	v_lshrrev_b32_e32 v9, 16, v29
	v_mul_f16_e64 v11, v245, v29
	s_delay_alu instid0(VALU_DEP_2) | instskip(NEXT) | instid1(VALU_DEP_2)
	v_mul_f16_e64 v10, v245, v9
	v_fma_f16 v9, v229, v9, -v11
	v_lshrrev_b32_e32 v11, 16, v30
	s_delay_alu instid0(VALU_DEP_3) | instskip(NEXT) | instid1(VALU_DEP_3)
	v_fmac_f16_e64 v10, v229, v29
	v_add_f16_e32 v29, v27, v9
	s_delay_alu instid0(VALU_DEP_3)
	v_add_f16_e32 v12, v11, v40
	v_fmac_f16_e32 v11, -0.5, v13
	v_add_f16_e32 v13, v30, v32
	v_add_f16_e32 v32, v20, v27
	v_fmac_f16_e32 v20, -0.5, v29
	v_add_f16_e32 v29, v17, v25
	v_add_f16_e32 v33, v25, v10
	v_sub_f16_e32 v25, v25, v10
	v_sub_f16_e32 v27, v27, v9
	v_add_f16_e32 v12, v12, v42
	v_add_f16_e32 v10, v29, v10
	v_fmac_f16_e32 v17, -0.5, v33
	v_fmamk_f16 v29, v25, 0x3aee, v20
	v_add_f16_e32 v13, v13, v34
	v_add_f16_e32 v9, v32, v9
	v_fmac_f16_e32 v20, 0xbaee, v25
	v_fmamk_f16 v33, v27, 0xbaee, v17
	v_mul_f16_e32 v32, 0xbaee, v29
	v_mul_f16_e32 v29, 0.5, v29
	v_add_f16_e32 v34, v12, v9
	v_sub_f16_e32 v9, v12, v9
	v_fmamk_f16 v30, v14, 0xbaee, v15
	v_fmac_f16_e32 v32, 0.5, v33
	v_fmac_f16_e32 v29, 0x3aee, v33
	v_add_f16_e32 v33, v13, v10
	v_sub_f16_e32 v10, v13, v10
	v_fmac_f16_e32 v15, 0x3aee, v14
	v_fmac_f16_e32 v17, 0x3aee, v27
	v_mul_f16_e32 v14, 0xbaee, v20
	v_mul_f16_e32 v20, -0.5, v20
	v_pack_b32_f16 v9, v10, v9
	scratch_load_b32 v10, off, off offset:360 th:TH_LOAD_LU ; 4-byte Folded Reload
	v_pack_b32_f16 v33, v33, v34
	v_fmamk_f16 v34, v28, 0x3aee, v11
	v_fmac_f16_e32 v11, 0xbaee, v28
	v_fmac_f16_e32 v14, -0.5, v17
	v_fmac_f16_e32 v20, 0x3aee, v17
	v_add_f16_e32 v35, v30, v32
	v_add_f16_e32 v36, v34, v29
	s_delay_alu instid0(VALU_DEP_4) | instskip(NEXT) | instid1(VALU_DEP_4)
	v_add_f16_e32 v12, v15, v14
	v_add_f16_e32 v13, v11, v20
	v_sub_f16_e32 v11, v11, v20
	s_delay_alu instid0(VALU_DEP_4) | instskip(NEXT) | instid1(VALU_DEP_3)
	v_pack_b32_f16 v35, v35, v36
	v_pack_b32_f16 v12, v12, v13
	v_add_f16_e32 v13, v31, v19
	ds_store_2addr_b32 v250, v33, v35 offset1:90
	v_add_f16_e32 v13, v13, v21
	s_wait_loadcnt 0x0
	ds_store_2addr_b32 v10, v12, v9 offset0:52 offset1:142
	v_sub_f16_e32 v10, v15, v14
	v_sub_f16_e32 v9, v30, v32
	;; [unrolled: 1-line block ×3, first 2 shown]
	v_add_f16_e32 v14, v24, v26
	v_sub_f16_e32 v15, v24, v26
	v_pack_b32_f16 v10, v10, v11
	scratch_load_b32 v11, off, off offset:364 th:TH_LOAD_LU ; 4-byte Folded Reload
	v_pack_b32_f16 v9, v9, v12
	v_lshrrev_b32_e32 v12, 16, v31
	s_wait_loadcnt 0x0
	ds_store_2addr_b32 v11, v9, v10 offset0:104 offset1:194
	v_lshrrev_b32_e32 v9, 16, v48
	v_mul_f16_e64 v10, v219, v48
	s_delay_alu instid0(VALU_DEP_2) | instskip(NEXT) | instid1(VALU_DEP_2)
	v_mul_f16_e64 v11, v219, v9
	v_fma_f16 v9, v220, v9, -v10
	v_add_f16_e32 v10, v19, v21
	s_delay_alu instid0(VALU_DEP_3) | instskip(NEXT) | instid1(VALU_DEP_3)
	v_fmac_f16_e64 v11, v220, v48
	v_add_f16_e32 v17, v22, v9
	s_delay_alu instid0(VALU_DEP_3)
	v_fmac_f16_e32 v31, -0.5, v10
	v_add_f16_e32 v10, v12, v24
	v_fmac_f16_e32 v12, -0.5, v14
	v_sub_f16_e32 v14, v19, v21
	v_add_f16_e32 v19, v18, v22
	v_fmac_f16_e32 v18, -0.5, v17
	v_add_f16_e32 v17, v16, v23
	v_add_f16_e32 v20, v23, v11
	v_sub_f16_e32 v21, v23, v11
	v_add_f16_e32 v10, v10, v26
	v_fmamk_f16 v24, v14, 0x3aee, v12
	v_add_f16_e32 v11, v17, v11
	v_fmac_f16_e32 v16, -0.5, v20
	v_sub_f16_e32 v17, v22, v9
	v_add_f16_e32 v9, v19, v9
	v_fmamk_f16 v19, v21, 0x3aee, v18
	v_fmac_f16_e32 v18, 0xbaee, v21
	v_fmac_f16_e32 v12, 0xbaee, v14
	v_fmamk_f16 v22, v17, 0xbaee, v16
	v_add_f16_e32 v23, v10, v9
	v_mul_f16_e32 v20, 0xbaee, v19
	v_mul_f16_e32 v19, 0.5, v19
	v_sub_f16_e32 v9, v10, v9
	v_fmac_f16_e32 v16, 0x3aee, v17
	v_mul_f16_e32 v14, 0xbaee, v18
	v_fmac_f16_e32 v20, 0.5, v22
	v_fmac_f16_e32 v19, 0x3aee, v22
	v_add_f16_e32 v22, v13, v11
	v_sub_f16_e32 v11, v13, v11
	v_fmac_f16_e32 v14, -0.5, v16
	s_delay_alu instid0(VALU_DEP_4) | instskip(NEXT) | instid1(VALU_DEP_4)
	v_add_f16_e32 v26, v24, v19
	v_pack_b32_f16 v22, v22, v23
	s_delay_alu instid0(VALU_DEP_4) | instskip(SKIP_4) | instid1(VALU_DEP_3)
	v_pack_b32_f16 v9, v11, v9
	scratch_load_b32 v11, off, off offset:356 th:TH_LOAD_LU ; 4-byte Folded Reload
	v_fmamk_f16 v23, v15, 0xbaee, v31
	v_fmac_f16_e32 v31, 0x3aee, v15
	v_mul_f16_e32 v15, -0.5, v18
	v_add_f16_e32 v25, v23, v20
	s_delay_alu instid0(VALU_DEP_3) | instskip(NEXT) | instid1(VALU_DEP_3)
	v_add_f16_e32 v10, v31, v14
	v_fmac_f16_e32 v15, 0x3aee, v16
	s_delay_alu instid0(VALU_DEP_3) | instskip(NEXT) | instid1(VALU_DEP_2)
	v_pack_b32_f16 v25, v25, v26
	v_add_f16_e32 v13, v12, v15
	v_sub_f16_e32 v12, v12, v15
	v_add_f16_e32 v15, v2, v5
	ds_store_2addr_b32 v249, v22, v25 offset1:90
	v_pack_b32_f16 v10, v10, v13
	v_add_f16_e32 v13, v0, v3
	s_wait_loadcnt 0x0
	ds_store_2addr_b32 v11, v10, v9 offset0:52 offset1:142
	v_sub_f16_e32 v10, v23, v20
	v_sub_f16_e32 v11, v24, v19
	;; [unrolled: 1-line block ×3, first 2 shown]
	v_add_f16_e32 v14, v1, v4
	s_delay_alu instid0(VALU_DEP_3) | instskip(SKIP_3) | instid1(VALU_DEP_1)
	v_pack_b32_f16 v10, v10, v11
	scratch_load_b32 v11, off, off offset:344 th:TH_LOAD_LU ; 4-byte Folded Reload
	v_pack_b32_f16 v9, v9, v12
	v_lshrrev_b32_e32 v12, 16, v0
	v_add_f16_e32 v16, v12, v6
	s_wait_loadcnt 0x0
	ds_store_2addr_b32 v11, v10, v9 offset0:104 offset1:194
	v_lshrrev_b32_e32 v9, 16, v49
	v_lshrrev_b32_e32 v11, 16, v179
	s_delay_alu instid0(VALU_DEP_1) | instskip(SKIP_1) | instid1(VALU_DEP_2)
	v_mul_f16_e32 v10, v11, v9
	v_mul_f16_e32 v11, v11, v49
	v_fmac_f16_e64 v10, v179, v49
	s_delay_alu instid0(VALU_DEP_2) | instskip(SKIP_4) | instid1(VALU_DEP_4)
	v_fma_f16 v9, v179, v9, -v11
	v_add_f16_e32 v11, v3, v8
	v_sub_f16_e32 v3, v3, v8
	v_add_f16_e32 v8, v13, v8
	v_lshrrev_b32_e32 v49, 16, v184
	v_fmac_f16_e32 v0, -0.5, v11
	v_add_f16_e32 v11, v4, v10
	v_sub_f16_e32 v4, v4, v10
	v_add_f16_e32 v10, v14, v10
	s_delay_alu instid0(VALU_DEP_3) | instskip(SKIP_3) | instid1(VALU_DEP_3)
	v_fmac_f16_e32 v1, -0.5, v11
	v_add_f16_e32 v11, v5, v9
	v_sub_f16_e32 v5, v5, v9
	v_add_f16_e32 v9, v15, v9
	v_fmac_f16_e32 v2, -0.5, v11
	v_add_f16_e32 v11, v6, v7
	v_sub_f16_e32 v6, v6, v7
	v_add_f16_e32 v7, v16, v7
	v_fmamk_f16 v14, v5, 0xbaee, v1
	v_fmac_f16_e32 v1, 0x3aee, v5
	v_fmac_f16_e32 v12, -0.5, v11
	v_fmamk_f16 v11, v4, 0x3aee, v2
	v_fmac_f16_e32 v2, 0xbaee, v4
	v_add_f16_e32 v15, v7, v9
	v_sub_f16_e32 v4, v7, v9
	v_fmamk_f16 v16, v3, 0x3aee, v12
	v_mul_f16_e32 v13, 0xbaee, v11
	v_mul_f16_e32 v11, 0.5, v11
	v_fmac_f16_e32 v12, 0xbaee, v3
	v_mul_f16_e32 v3, 0xbaee, v2
	v_mul_f16_e32 v2, -0.5, v2
	v_fmac_f16_e32 v13, 0.5, v14
	v_fmac_f16_e32 v11, 0x3aee, v14
	v_add_f16_e32 v14, v8, v10
	v_fmac_f16_e32 v3, -0.5, v1
	v_fmac_f16_e32 v2, 0x3aee, v1
	v_sub_f16_e32 v1, v8, v10
	v_add_f16_e32 v18, v16, v11
	v_pack_b32_f16 v14, v14, v15
	v_fmamk_f16 v15, v6, 0xbaee, v0
	v_fmac_f16_e32 v0, 0x3aee, v6
	v_pack_b32_f16 v1, v1, v4
	scratch_load_b32 v4, off, off offset:328 th:TH_LOAD_LU ; 4-byte Folded Reload
	v_add_f16_e32 v6, v12, v2
	v_sub_f16_e32 v2, v12, v2
	v_add_f16_e32 v5, v0, v3
	v_sub_f16_e32 v0, v0, v3
	;; [unrolled: 2-line block ×3, first 2 shown]
	s_delay_alu instid0(VALU_DEP_4) | instskip(NEXT) | instid1(VALU_DEP_4)
	v_pack_b32_f16 v5, v5, v6
	v_pack_b32_f16 v0, v0, v2
	scratch_load_b32 v2, off, off offset:332 th:TH_LOAD_LU ; 4-byte Folded Reload
	v_pack_b32_f16 v17, v17, v18
	ds_store_2addr_b32 v215, v14, v17 offset1:90
	s_wait_loadcnt 0x1
	ds_store_2addr_b32 v4, v5, v1 offset0:52 offset1:142
	v_sub_f16_e32 v1, v15, v13
	s_delay_alu instid0(VALU_DEP_1)
	v_pack_b32_f16 v1, v1, v3
	s_wait_loadcnt 0x0
	ds_store_2addr_b32 v2, v1, v0 offset0:104 offset1:194
	global_wb scope:SCOPE_SE
	s_wait_dscnt 0x0
	s_barrier_signal -1
	s_barrier_wait -1
	global_inv scope:SCOPE_SE
	ds_load_2addr_b32 v[0:1], v197 offset0:48 offset1:156
	s_wait_dscnt 0x0
	v_lshrrev_b32_e32 v2, 16, v1
	v_mul_f16_e32 v3, v94, v1
	s_delay_alu instid0(VALU_DEP_2) | instskip(NEXT) | instid1(VALU_DEP_2)
	v_mul_f16_e32 v19, v94, v2
	v_fma_f16 v24, v44, v2, -v3
	ds_load_2addr_b32 v[2:3], v160 offset0:56 offset1:164
	v_fmac_f16_e32 v19, v44, v1
	s_wait_dscnt 0x0
	v_lshrrev_b32_e32 v4, 16, v2
	v_mul_f16_e32 v5, v102, v2
	s_delay_alu instid0(VALU_DEP_2) | instskip(NEXT) | instid1(VALU_DEP_2)
	v_mul_f16_e32 v36, v102, v4
	v_fma_f16 v37, v45, v4, -v5
	ds_load_2addr_b32 v[4:5], v149 offset0:104 offset1:212
	v_fmac_f16_e32 v36, v45, v2
	ds_load_2addr_b32 v[1:2], v114 offset0:136 offset1:244
	s_wait_dscnt 0x1
	v_lshrrev_b32_e32 v6, 16, v5
	v_mul_f16_e32 v7, v92, v5
	s_delay_alu instid0(VALU_DEP_2) | instskip(NEXT) | instid1(VALU_DEP_2)
	v_mul_f16_e32 v33, v92, v6
	v_fma_f16 v34, v46, v6, -v7
	ds_load_2addr_b32 v[6:7], v159 offset0:112 offset1:220
	v_fmac_f16_e32 v33, v46, v5
	v_lshrrev_b32_e32 v5, 16, v3
	ds_load_2addr_b32 v[45:46], v145 offset0:24 offset1:132
	v_mul_f16_e32 v22, v90, v5
	s_delay_alu instid0(VALU_DEP_1) | instskip(SKIP_4) | instid1(VALU_DEP_3)
	v_fmac_f16_e32 v22, v53, v3
	v_mul_f16_e32 v3, v90, v3
	s_wait_dscnt 0x1
	v_lshrrev_b32_e32 v8, 16, v6
	v_mul_f16_e32 v9, v121, v6
	v_fma_f16 v35, v53, v5, -v3
	v_lshrrev_b32_e32 v53, 16, v175
	s_delay_alu instid0(VALU_DEP_4) | instskip(NEXT) | instid1(VALU_DEP_4)
	v_mul_f16_e32 v40, v121, v8
	v_fma_f16 v39, v47, v8, -v9
	v_lshrrev_b32_e32 v8, 16, v7
	v_mul_f16_e32 v9, v105, v7
	s_wait_dscnt 0x0
	v_mul_f16_e64 v13, v139, v46
	v_fmac_f16_e32 v40, v47, v6
	v_lshrrev_b32_e32 v6, 16, v1
	v_mul_f16_e32 v30, v105, v8
	v_fma_f16 v38, v55, v8, -v9
	v_add_f16_e32 v69, v37, v39
	v_add_f16_e32 v67, v36, v40
	v_mul_f16_e32 v29, v120, v6
	v_fmac_f16_e32 v30, v55, v7
	v_mul_f16_e32 v7, v120, v1
	s_delay_alu instid0(VALU_DEP_3) | instskip(SKIP_1) | instid1(VALU_DEP_3)
	v_fmac_f16_e32 v29, v52, v1
	v_lshrrev_b32_e32 v1, 16, v2
	v_fma_f16 v32, v52, v6, -v7
	ds_load_2addr_b32 v[6:7], v223 offset0:64 offset1:172
	s_wait_dscnt 0x0
	v_lshrrev_b32_e32 v3, 16, v6
	v_mul_f16_e32 v5, v115, v6
	s_delay_alu instid0(VALU_DEP_2) | instskip(NEXT) | instid1(VALU_DEP_2)
	v_mul_f16_e32 v44, v115, v3
	v_fma_f16 v43, v54, v3, -v5
	v_mul_f16_e64 v3, v173, v2
	v_lshrrev_b32_e32 v5, 16, v7
	s_delay_alu instid0(VALU_DEP_4) | instskip(SKIP_1) | instid1(VALU_DEP_4)
	v_fmac_f16_e32 v44, v54, v6
	v_mul_f16_e64 v6, v173, v1
	v_fma_f16 v9, v60, v1, -v3
	s_delay_alu instid0(VALU_DEP_4)
	v_mul_f16_e32 v27, v127, v5
	v_lshrrev_b32_e32 v54, 16, v192
	v_add_f16_e32 v65, v29, v44
	v_fmac_f16_e32 v6, v60, v2
	ds_load_2addr_b32 v[1:2], v111 offset0:16 offset1:124
	v_fmac_f16_e32 v27, v62, v7
	v_mul_f16_e32 v7, v127, v7
	v_add_f16_e32 v66, v32, v43
	s_delay_alu instid0(VALU_DEP_2) | instskip(SKIP_3) | instid1(VALU_DEP_2)
	v_fma_f16 v31, v62, v5, -v7
	s_wait_dscnt 0x0
	v_lshrrev_b32_e32 v3, 16, v1
	v_mul_f16_e64 v8, v176, v1
	v_mul_f16_e64 v23, v176, v3
	s_delay_alu instid0(VALU_DEP_2)
	v_fma_f16 v25, v61, v3, -v8
	ds_load_2addr_b32 v[7:8], v147 offset0:72 offset1:180
	v_fmac_f16_e32 v23, v61, v1
	v_add_f16_e32 v61, v22, v30
	s_wait_dscnt 0x0
	v_lshrrev_b32_e32 v3, 16, v7
	v_mul_f16_e32 v5, v88, v7
	s_delay_alu instid0(VALU_DEP_2) | instskip(NEXT) | instid1(VALU_DEP_2)
	v_mul_f16_e32 v20, v88, v3
	v_fma_f16 v21, v63, v3, -v5
	v_lshrrev_b32_e32 v3, 16, v2
	v_mul_f16_e64 v5, v171, v2
	s_delay_alu instid0(VALU_DEP_4) | instskip(SKIP_1) | instid1(VALU_DEP_4)
	v_fmac_f16_e32 v20, v63, v7
	v_lshrrev_b32_e32 v7, 16, v8
	v_mul_f16_e64 v10, v171, v3
	s_delay_alu instid0(VALU_DEP_4)
	v_fma_f16 v26, v57, v3, -v5
	v_lshrrev_b32_e32 v3, 16, v45
	v_mul_f16_e64 v5, v170, v45
	v_mul_f16_e64 v16, v172, v7
	v_fmac_f16_e32 v10, v57, v2
	ds_load_2addr_b32 v[1:2], v134 offset0:96 offset1:204
	v_mul_f16_e64 v42, v170, v3
	v_fma_f16 v41, v58, v3, -v5
	v_fmac_f16_e32 v16, v59, v8
	v_mul_f16_e64 v8, v172, v8
	v_lshrrev_b32_e32 v3, 16, v4
	v_fmac_f16_e32 v42, v58, v45
	s_delay_alu instid0(VALU_DEP_3) | instskip(NEXT) | instid1(VALU_DEP_3)
	v_fma_f16 v28, v59, v7, -v8
	v_mul_f16_e64 v8, v138, v3
	s_delay_alu instid0(VALU_DEP_1)
	v_fmac_f16_e32 v8, v107, v4
	v_mul_f16_e64 v4, v138, v4
	s_wait_dscnt 0x0
	v_lshrrev_b32_e32 v11, 16, v1
	v_mul_f16_e64 v12, v169, v1
	v_add_f16_e32 v55, v0, v8
	s_delay_alu instid0(VALU_DEP_3) | instskip(NEXT) | instid1(VALU_DEP_3)
	v_mul_f16_e64 v17, v169, v11
	v_fma_f16 v18, v56, v11, -v12
	v_lshrrev_b32_e32 v12, 16, v46
	v_fma_f16 v11, v107, v3, -v4
	s_delay_alu instid0(VALU_DEP_4) | instskip(SKIP_1) | instid1(VALU_DEP_4)
	v_fmac_f16_e32 v17, v56, v1
	v_lshrrev_b32_e32 v1, 16, v2
	v_mul_f16_e64 v45, v139, v12
	v_fma_f16 v14, v108, v12, -v13
	s_delay_alu instid0(VALU_DEP_3) | instskip(NEXT) | instid1(VALU_DEP_3)
	v_mul_f16_e64 v5, v140, v1
	v_fmac_f16_e32 v45, v108, v46
	s_delay_alu instid0(VALU_DEP_2) | instskip(SKIP_1) | instid1(VALU_DEP_2)
	v_fmac_f16_e32 v5, v106, v2
	v_mul_f16_e64 v2, v140, v2
	v_add_f16_e32 v57, v5, v45
	s_delay_alu instid0(VALU_DEP_2)
	v_fma_f16 v7, v106, v1, -v2
	ds_load_2addr_b32 v[1:2], v190 offset0:32 offset1:140
	v_add_f16_e32 v56, v7, v14
	s_wait_dscnt 0x0
	v_lshrrev_b32_e32 v3, 16, v1
	v_mul_f16_e64 v4, v135, v1
	s_delay_alu instid0(VALU_DEP_2) | instskip(NEXT) | instid1(VALU_DEP_2)
	v_mul_f16_e64 v12, v135, v3
	v_fma_f16 v13, v109, v3, -v4
	scratch_load_b64 v[3:4], off, off offset:216 th:TH_LOAD_LU ; 8-byte Folded Reload
	v_fmac_f16_e32 v12, v109, v1
	s_wait_loadcnt 0x0
	v_mov_b32_e32 v15, v3
	s_delay_alu instid0(VALU_DEP_1) | instskip(NEXT) | instid1(VALU_DEP_1)
	v_mad_co_u64_u32 v[3:4], null, s10, v15, 0
	v_mov_b32_e32 v1, v4
	s_delay_alu instid0(VALU_DEP_1) | instskip(SKIP_2) | instid1(VALU_DEP_1)
	v_mad_co_u64_u32 v[46:47], null, s11, v15, v[1:2]
	s_mov_b32 s10, 0x30abee4d
	s_mov_b32 s11, 0x3f343a27
	v_mov_b32_e32 v4, v46
	v_mad_co_u64_u32 v[46:47], null, s8, v153, 0
	s_delay_alu instid0(VALU_DEP_2) | instskip(NEXT) | instid1(VALU_DEP_2)
	v_lshlrev_b64_e32 v[3:4], 2, v[3:4]
	v_mov_b32_e32 v1, v47
	s_delay_alu instid0(VALU_DEP_1) | instskip(NEXT) | instid1(VALU_DEP_3)
	v_mad_co_u64_u32 v[47:48], null, s9, v153, v[1:2]
	v_add_co_u32 v1, vcc_lo, s0, v3
	s_wait_alu 0xfffd
	s_delay_alu instid0(VALU_DEP_4) | instskip(SKIP_1) | instid1(VALU_DEP_3)
	v_add_co_ci_u32_e32 v15, vcc_lo, s1, v4, vcc_lo
	s_mul_u64 s[8:9], s[8:9], s[12:13]
	v_lshlrev_b64_e32 v[3:4], 2, v[46:47]
	v_lshrrev_b32_e32 v46, 16, v182
	s_delay_alu instid0(VALU_DEP_2) | instskip(SKIP_2) | instid1(VALU_DEP_4)
	v_add_co_u32 v3, vcc_lo, v1, v3
	v_lshrrev_b32_e32 v1, 16, v2
	s_wait_alu 0xfffd
	v_add_co_ci_u32_e32 v4, vcc_lo, v15, v4, vcc_lo
	s_delay_alu instid0(VALU_DEP_2) | instskip(SKIP_1) | instid1(VALU_DEP_2)
	v_mul_f16_e32 v15, v46, v1
	v_mul_f16_e32 v46, v46, v2
	v_fmac_f16_e64 v15, v182, v2
	s_delay_alu instid0(VALU_DEP_2) | instskip(SKIP_4) | instid1(VALU_DEP_2)
	v_fma_f16 v46, v182, v1, -v46
	ds_load_2addr_b32 v[1:2], v148 offset0:120 offset1:228
	s_wait_dscnt 0x0
	v_lshrrev_b32_e32 v47, 16, v1
	v_mul_f16_e32 v48, v49, v1
	v_mul_f16_e32 v49, v49, v47
	s_delay_alu instid0(VALU_DEP_2) | instskip(NEXT) | instid1(VALU_DEP_2)
	v_fma_f16 v47, v184, v47, -v48
	v_fmac_f16_e64 v49, v184, v1
	v_lshrrev_b32_e32 v1, 16, v2
	s_delay_alu instid0(VALU_DEP_1) | instskip(SKIP_1) | instid1(VALU_DEP_2)
	v_mul_f16_e32 v48, v50, v1
	v_mul_f16_e32 v50, v50, v2
	v_fmac_f16_e64 v48, v191, v2
	s_delay_alu instid0(VALU_DEP_2) | instskip(SKIP_4) | instid1(VALU_DEP_2)
	v_fma_f16 v50, v191, v1, -v50
	ds_load_2addr_b32 v[1:2], v174 offset0:80 offset1:188
	s_wait_dscnt 0x0
	v_lshrrev_b32_e32 v51, 16, v2
	v_mul_f16_e32 v52, v53, v2
	v_mul_f16_e32 v53, v53, v51
	s_delay_alu instid0(VALU_DEP_2) | instskip(NEXT) | instid1(VALU_DEP_2)
	v_fma_f16 v51, v175, v51, -v52
	v_fmac_f16_e64 v53, v175, v2
	v_lshrrev_b32_e32 v2, 16, v1
	s_delay_alu instid0(VALU_DEP_1) | instskip(SKIP_1) | instid1(VALU_DEP_2)
	v_mul_f16_e32 v52, v54, v2
	v_mul_f16_e32 v54, v54, v1
	v_fmac_f16_e64 v52, v192, v1
	v_add_f16_e32 v1, v8, v12
	s_delay_alu instid0(VALU_DEP_3) | instskip(SKIP_1) | instid1(VALU_DEP_3)
	v_fma_f16 v2, v192, v2, -v54
	v_lshrrev_b32_e32 v54, 16, v0
	v_fmac_f16_e32 v0, -0.5, v1
	v_add_f16_e32 v1, v14, v51
	s_delay_alu instid0(VALU_DEP_1) | instskip(SKIP_1) | instid1(VALU_DEP_1)
	v_fmac_f16_e32 v7, -0.5, v1
	v_add_f16_e32 v1, v45, v53
	v_fmac_f16_e32 v5, -0.5, v1
	v_sub_f16_e32 v1, v45, v53
	s_delay_alu instid0(VALU_DEP_1) | instskip(SKIP_2) | instid1(VALU_DEP_1)
	v_fmamk_f16 v45, v1, 0x3aee, v7
	v_fmac_f16_e32 v7, 0xbaee, v1
	v_sub_f16_e32 v1, v11, v13
	v_fmamk_f16 v58, v1, 0xbaee, v0
	v_fmac_f16_e32 v0, 0x3aee, v1
	v_sub_f16_e32 v1, v14, v51
	s_delay_alu instid0(VALU_DEP_1) | instskip(SKIP_2) | instid1(VALU_DEP_1)
	v_fmamk_f16 v14, v1, 0xbaee, v5
	v_fmac_f16_e32 v5, 0x3aee, v1
	v_mul_f16_e32 v1, 0xbaee, v7
	v_fmac_f16_e32 v1, -0.5, v5
	s_delay_alu instid0(VALU_DEP_1)
	v_add_f16_e32 v59, v0, v1
	v_sub_f16_e32 v60, v0, v1
	ds_load_2addr_b32 v[0:1], v151 offset1:108
	s_wait_dscnt 0x0
	v_lshrrev_b32_e32 v62, 16, v1
	v_add_f16_e32 v63, v1, v22
	v_fmac_f16_e32 v1, -0.5, v61
	v_sub_f16_e32 v61, v35, v38
	v_fma_f16 v67, -0.5, v67, v0
	s_delay_alu instid0(VALU_DEP_2) | instskip(SKIP_3) | instid1(VALU_DEP_2)
	v_fmamk_f16 v64, v61, 0xbaee, v1
	v_fmac_f16_e32 v1, 0x3aee, v61
	v_add_f16_e32 v61, v44, v49
	v_sub_f16_e32 v44, v44, v49
	v_fmac_f16_e32 v29, -0.5, v61
	v_add_f16_e32 v61, v43, v47
	v_sub_f16_e32 v43, v43, v47
	v_add_f16_e32 v47, v66, v47
	s_delay_alu instid0(VALU_DEP_3) | instskip(NEXT) | instid1(VALU_DEP_1)
	v_fmac_f16_e32 v32, -0.5, v61
	v_fmamk_f16 v61, v44, 0x3aee, v32
	v_fmac_f16_e32 v32, 0xbaee, v44
	v_fmamk_f16 v44, v43, 0xbaee, v29
	v_fmac_f16_e32 v29, 0x3aee, v43
	s_delay_alu instid0(VALU_DEP_3) | instskip(NEXT) | instid1(VALU_DEP_1)
	v_mul_f16_e32 v43, 0xbaee, v32
	v_fmac_f16_e32 v43, -0.5, v29
	s_delay_alu instid0(VALU_DEP_1) | instskip(SKIP_4) | instid1(VALU_DEP_3)
	v_add_f16_e32 v68, v1, v43
	v_sub_f16_e32 v43, v1, v43
	v_lshrrev_b32_e32 v1, 16, v0
	v_add_f16_e32 v0, v0, v36
	v_sub_f16_e32 v36, v36, v40
	v_add_f16_e32 v70, v1, v37
	v_fmac_f16_e32 v1, -0.5, v69
	v_sub_f16_e32 v37, v37, v39
	v_add_f16_e32 v0, v0, v40
	v_add_f16_e32 v69, v19, v33
	s_delay_alu instid0(VALU_DEP_3)
	v_fmamk_f16 v40, v37, 0xbaee, v67
	v_fmac_f16_e32 v67, 0x3aee, v37
	v_add_f16_e32 v37, v70, v39
	v_fmamk_f16 v39, v36, 0x3aee, v1
	v_fmac_f16_e32 v1, 0xbaee, v36
	v_add_f16_e32 v36, v33, v15
	v_add_f16_e32 v70, v24, v34
	s_delay_alu instid0(VALU_DEP_2) | instskip(SKIP_1) | instid1(VALU_DEP_1)
	v_fmac_f16_e32 v19, -0.5, v36
	v_add_f16_e32 v36, v34, v46
	v_fmac_f16_e32 v24, -0.5, v36
	v_add_f16_e32 v36, v69, v15
	v_sub_f16_e32 v15, v33, v15
	v_sub_f16_e32 v33, v34, v46
	s_delay_alu instid0(VALU_DEP_1) | instskip(SKIP_4) | instid1(VALU_DEP_2)
	v_fmamk_f16 v34, v33, 0xbaee, v19
	v_fmac_f16_e32 v19, 0x3aee, v33
	v_add_f16_e32 v33, v70, v46
	v_fmamk_f16 v46, v15, 0x3aee, v24
	v_fmac_f16_e32 v24, 0xbaee, v15
	v_mul_f16_e32 v15, 0xbaee, v46
	v_mul_f16_e32 v46, 0.5, v46
	s_delay_alu instid0(VALU_DEP_2) | instskip(NEXT) | instid1(VALU_DEP_2)
	v_fmac_f16_e32 v15, 0.5, v34
	v_fmac_f16_e32 v46, 0x3aee, v34
	v_mul_f16_e32 v34, 0xbaee, v24
	v_mul_f16_e32 v24, -0.5, v24
	s_delay_alu instid0(VALU_DEP_2) | instskip(NEXT) | instid1(VALU_DEP_2)
	v_fmac_f16_e32 v34, -0.5, v19
	v_fmac_f16_e32 v24, 0x3aee, v19
	v_add_f16_e32 v19, v0, v36
	v_sub_f16_e32 v0, v0, v36
	v_add_f16_e32 v36, v40, v15
	v_sub_f16_e32 v15, v40, v15
	;; [unrolled: 2-line block ×6, first 2 shown]
	v_pack_b32_f16 v33, v0, v33
	v_add_f16_e32 v0, v62, v35
	v_add_f16_e32 v24, v65, v49
	v_pack_b32_f16 v36, v36, v37
	v_pack_b32_f16 v37, v40, v46
	;; [unrolled: 1-line block ×3, first 2 shown]
	v_add_f16_e32 v39, v63, v30
	v_add_f16_e32 v40, v0, v38
	v_pack_b32_f16 v34, v34, v1
	v_pack_b32_f16 v19, v19, v67
	ds_store_b32 v151, v36 offset:2160
	v_add_f16_e32 v0, v39, v24
	v_add_f16_e32 v1, v40, v47
	;; [unrolled: 1-line block ×4, first 2 shown]
	s_delay_alu instid0(VALU_DEP_3)
	v_pack_b32_f16 v46, v0, v1
	ds_load_2addr_b32 v[0:1], v113 offset0:88 offset1:196
	ds_store_b32 v151, v37 offset:4320
	ds_store_b32 v151, v33 offset:6480
	;; [unrolled: 1-line block ×4, first 2 shown]
	ds_store_2addr_b32 v151, v19, v46 offset1:108
	v_add_f16_e32 v15, v35, v38
	v_add_f16_e32 v37, v18, v41
	;; [unrolled: 1-line block ×3, first 2 shown]
	s_delay_alu instid0(VALU_DEP_3) | instskip(SKIP_3) | instid1(VALU_DEP_3)
	v_fmac_f16_e32 v62, -0.5, v15
	v_sub_f16_e32 v15, v22, v30
	v_mul_f16_e32 v22, 0.5, v61
	v_mul_f16_e32 v30, -0.5, v32
	v_fmamk_f16 v19, v15, 0x3aee, v62
	s_delay_alu instid0(VALU_DEP_3)
	v_fmac_f16_e32 v22, 0x3aee, v44
	v_fmac_f16_e32 v62, 0xbaee, v15
	v_mul_f16_e32 v15, 0xbaee, v61
	v_add_f16_e32 v61, v6, v27
	v_fmac_f16_e32 v30, 0x3aee, v29
	v_add_f16_e32 v32, v19, v22
	v_sub_f16_e32 v19, v19, v22
	v_add_f16_e32 v22, v10, v16
	s_wait_dscnt 0x5
	v_lshrrev_b32_e32 v33, 16, v1
	v_add_f16_e32 v34, v1, v10
	v_fmac_f16_e32 v15, 0.5, v44
	v_fmac_f16_e32 v1, -0.5, v22
	v_sub_f16_e32 v22, v26, v28
	s_delay_alu instid0(VALU_DEP_3) | instskip(SKIP_1) | instid1(VALU_DEP_3)
	v_add_f16_e32 v29, v64, v15
	v_sub_f16_e32 v15, v64, v15
	v_fmamk_f16 v35, v22, 0xbaee, v1
	v_fmac_f16_e32 v1, 0x3aee, v22
	v_add_f16_e32 v22, v42, v52
	s_delay_alu instid0(VALU_DEP_4) | instskip(SKIP_1) | instid1(VALU_DEP_3)
	v_pack_b32_f16 v15, v15, v19
	v_pack_b32_f16 v19, v29, v32
	v_fmac_f16_e32 v17, -0.5, v22
	v_add_f16_e32 v22, v41, v2
	s_delay_alu instid0(VALU_DEP_1) | instskip(SKIP_2) | instid1(VALU_DEP_2)
	v_fmac_f16_e32 v18, -0.5, v22
	v_sub_f16_e32 v22, v42, v52
	v_add_f16_e32 v42, v23, v20
	v_fmamk_f16 v38, v22, 0x3aee, v18
	v_fmac_f16_e32 v18, 0xbaee, v22
	v_sub_f16_e32 v22, v41, v2
	s_delay_alu instid0(VALU_DEP_4) | instskip(SKIP_1) | instid1(VALU_DEP_3)
	v_fma_f16 v42, -0.5, v42, v0
	v_add_f16_e32 v2, v37, v2
	v_fmamk_f16 v41, v22, 0xbaee, v17
	v_fmac_f16_e32 v17, 0x3aee, v22
	v_mul_f16_e32 v22, 0xbaee, v18
	s_delay_alu instid0(VALU_DEP_1) | instskip(NEXT) | instid1(VALU_DEP_1)
	v_fmac_f16_e32 v22, -0.5, v17
	v_add_f16_e32 v44, v1, v22
	v_sub_f16_e32 v1, v1, v22
	v_lshrrev_b32_e32 v22, 16, v0
	v_add_f16_e32 v0, v0, v23
	v_sub_f16_e32 v23, v23, v20
	s_delay_alu instid0(VALU_DEP_3)
	v_add_f16_e32 v49, v22, v25
	v_fmac_f16_e32 v22, -0.5, v46
	v_add_f16_e32 v46, v27, v48
	v_sub_f16_e32 v27, v27, v48
	v_sub_f16_e32 v25, v25, v21
	v_add_f16_e32 v0, v0, v20
	v_fmamk_f16 v32, v23, 0x3aee, v22
	v_fmac_f16_e32 v6, -0.5, v46
	v_add_f16_e32 v46, v31, v50
	v_sub_f16_e32 v31, v31, v50
	v_fmamk_f16 v29, v25, 0xbaee, v42
	v_add_f16_e32 v20, v49, v21
	v_add_f16_e32 v21, v61, v48
	v_fmac_f16_e32 v9, -0.5, v46
	v_fmamk_f16 v65, v31, 0xbaee, v6
	v_fmac_f16_e32 v6, 0x3aee, v31
	v_fmac_f16_e32 v42, 0x3aee, v25
	;; [unrolled: 1-line block ×3, first 2 shown]
	v_fmamk_f16 v46, v27, 0x3aee, v9
	v_fmac_f16_e32 v9, 0xbaee, v27
	s_delay_alu instid0(VALU_DEP_2) | instskip(SKIP_1) | instid1(VALU_DEP_2)
	v_mul_f16_e32 v64, 0xbaee, v46
	v_mul_f16_e32 v46, 0.5, v46
	v_fmac_f16_e32 v64, 0.5, v65
	s_delay_alu instid0(VALU_DEP_2) | instskip(SKIP_1) | instid1(VALU_DEP_3)
	v_fmac_f16_e32 v46, 0x3aee, v65
	v_add_f16_e32 v65, v62, v30
	v_add_f16_e32 v66, v29, v64
	s_delay_alu instid0(VALU_DEP_3) | instskip(NEXT) | instid1(VALU_DEP_3)
	v_add_f16_e32 v67, v32, v46
	v_pack_b32_f16 v65, v68, v65
	s_delay_alu instid0(VALU_DEP_2)
	v_pack_b32_f16 v66, v66, v67
	ds_store_b32 v151, v65 offset:4752
	ds_store_b32 v151, v15 offset:9072
	ds_store_2addr_b32 v114, v19, v66 offset0:136 offset1:244
	v_sub_f16_e32 v15, v39, v24
	v_sub_f16_e32 v19, v40, v47
	v_add_f16_e32 v24, v63, v50
	s_delay_alu instid0(VALU_DEP_2) | instskip(SKIP_1) | instid1(VALU_DEP_3)
	v_pack_b32_f16 v15, v15, v19
	v_sub_f16_e32 v19, v0, v21
	v_sub_f16_e32 v39, v20, v24
	v_add_f16_e32 v0, v0, v21
	s_delay_alu instid0(VALU_DEP_2) | instskip(SKIP_4) | instid1(VALU_DEP_3)
	v_pack_b32_f16 v19, v19, v39
	ds_store_2addr_b32 v223, v15, v19 offset0:64 offset1:172
	v_mul_f16_e32 v19, 0xbaee, v9
	v_mul_f16_e32 v9, -0.5, v9
	v_sub_f16_e32 v15, v62, v30
	v_fmac_f16_e32 v19, -0.5, v6
	s_delay_alu instid0(VALU_DEP_3) | instskip(NEXT) | instid1(VALU_DEP_3)
	v_fmac_f16_e32 v9, 0x3aee, v6
	v_pack_b32_f16 v6, v43, v15
	s_delay_alu instid0(VALU_DEP_3) | instskip(NEXT) | instid1(VALU_DEP_3)
	v_sub_f16_e32 v15, v42, v19
	v_sub_f16_e32 v23, v22, v9
	v_add_f16_e32 v9, v22, v9
	s_delay_alu instid0(VALU_DEP_2) | instskip(SKIP_4) | instid1(VALU_DEP_3)
	v_pack_b32_f16 v15, v15, v23
	ds_store_2addr_b32 v148, v6, v15 offset0:120 offset1:228
	v_add_f16_e32 v6, v20, v24
	v_add_f16_e32 v20, v33, v26
	;; [unrolled: 1-line block ×3, first 2 shown]
	v_pack_b32_f16 v0, v0, v6
	v_add_f16_e32 v6, v34, v16
	s_delay_alu instid0(VALU_DEP_4) | instskip(NEXT) | instid1(VALU_DEP_2)
	v_add_f16_e32 v20, v20, v28
	v_add_f16_e32 v21, v6, v15
	s_delay_alu instid0(VALU_DEP_2)
	v_add_f16_e32 v23, v20, v2
	v_sub_f16_e32 v6, v6, v15
	v_mul_f16_e32 v15, 0xbaee, v38
	v_sub_f16_e32 v2, v20, v2
	v_add_f16_e32 v20, v54, v11
	v_pack_b32_f16 v21, v21, v23
	s_delay_alu instid0(VALU_DEP_4) | instskip(NEXT) | instid1(VALU_DEP_4)
	v_fmac_f16_e32 v15, 0.5, v41
	v_pack_b32_f16 v2, v6, v2
	s_delay_alu instid0(VALU_DEP_4) | instskip(SKIP_3) | instid1(VALU_DEP_2)
	v_add_f16_e32 v20, v20, v13
	ds_store_2addr_b32 v113, v0, v21 offset0:88 offset1:196
	v_add_f16_e32 v0, v26, v28
	v_sub_f16_e32 v6, v35, v15
	v_fmac_f16_e32 v33, -0.5, v0
	v_sub_f16_e32 v0, v10, v16
	v_add_f16_e32 v10, v42, v19
	v_add_f16_e32 v19, v55, v12
	s_delay_alu instid0(VALU_DEP_3) | instskip(SKIP_4) | instid1(VALU_DEP_3)
	v_fmamk_f16 v16, v0, 0x3aee, v33
	v_fmac_f16_e32 v33, 0xbaee, v0
	v_mul_f16_e32 v0, -0.5, v18
	v_pack_b32_f16 v9, v10, v9
	v_add_f16_e32 v18, v56, v51
	v_fmac_f16_e32 v0, 0x3aee, v17
	v_mul_f16_e32 v17, 0.5, v38
	s_delay_alu instid0(VALU_DEP_3) | instskip(NEXT) | instid1(VALU_DEP_3)
	v_add_f16_e32 v22, v20, v18
	v_add_f16_e32 v10, v33, v0
	s_delay_alu instid0(VALU_DEP_3) | instskip(SKIP_1) | instid1(VALU_DEP_3)
	v_fmac_f16_e32 v17, 0x3aee, v41
	v_sub_f16_e32 v0, v33, v0
	v_pack_b32_f16 v10, v44, v10
	s_delay_alu instid0(VALU_DEP_2) | instskip(SKIP_3) | instid1(VALU_DEP_1)
	v_pack_b32_f16 v0, v1, v0
	ds_store_2addr_b32 v111, v9, v10 offset0:16 offset1:124
	v_sub_f16_e32 v9, v29, v64
	v_sub_f16_e32 v10, v32, v46
	v_pack_b32_f16 v9, v9, v10
	v_sub_f16_e32 v10, v16, v17
	s_delay_alu instid0(VALU_DEP_1)
	v_pack_b32_f16 v6, v6, v10
	ds_store_b32 v151, v2 offset:7776
	ds_store_2addr_b32 v147, v9, v6 offset0:72 offset1:180
	v_add_f16_e32 v2, v11, v13
	v_mul_f16_e32 v11, 0.5, v45
	v_add_f16_e32 v10, v57, v53
	v_add_f16_e32 v6, v35, v15
	;; [unrolled: 1-line block ×3, first 2 shown]
	v_fmac_f16_e32 v54, -0.5, v2
	v_sub_f16_e32 v2, v8, v12
	v_mul_f16_e32 v8, 0xbaee, v45
	v_fmac_f16_e32 v11, 0x3aee, v14
	v_add_f16_e32 v21, v19, v10
	v_pack_b32_f16 v6, v6, v9
	v_fmamk_f16 v1, v2, 0x3aee, v54
	v_fmac_f16_e32 v8, 0.5, v14
	v_fmac_f16_e32 v54, 0xbaee, v2
	v_pack_b32_f16 v21, v21, v22
	v_sub_f16_e32 v2, v19, v10
	v_add_f16_e32 v12, v1, v11
	v_add_f16_e32 v9, v58, v8
	v_sub_f16_e32 v1, v1, v11
	s_delay_alu instid0(VALU_DEP_2)
	v_pack_b32_f16 v9, v9, v12
	ds_store_b32 v151, v0 offset:12096
	ds_store_b32 v151, v21 offset:1728
	ds_store_2addr_b32 v134, v6, v9 offset0:96 offset1:204
	v_mul_f16_e32 v0, -0.5, v7
	v_sub_f16_e32 v6, v20, v18
	s_delay_alu instid0(VALU_DEP_2) | instskip(SKIP_1) | instid1(VALU_DEP_3)
	v_fmac_f16_e32 v0, 0x3aee, v5
	v_sub_f16_e32 v5, v58, v8
	v_pack_b32_f16 v2, v2, v6
	s_delay_alu instid0(VALU_DEP_3) | instskip(SKIP_1) | instid1(VALU_DEP_4)
	v_add_f16_e32 v7, v54, v0
	v_sub_f16_e32 v0, v54, v0
	v_pack_b32_f16 v1, v5, v1
	s_delay_alu instid0(VALU_DEP_3) | instskip(NEXT) | instid1(VALU_DEP_3)
	v_pack_b32_f16 v7, v59, v7
	v_pack_b32_f16 v0, v60, v0
	ds_store_b32 v151, v7 offset:6048
	ds_store_b32 v151, v2 offset:8208
	;; [unrolled: 1-line block ×4, first 2 shown]
	global_wb scope:SCOPE_SE
	s_wait_dscnt 0x0
	s_barrier_signal -1
	s_barrier_wait -1
	global_inv scope:SCOPE_SE
	s_clause 0x3
	scratch_load_b32 v17, off, off offset:240 th:TH_LOAD_LU
	scratch_load_b32 v18, off, off offset:244 th:TH_LOAD_LU
	;; [unrolled: 1-line block ×4, first 2 shown]
	ds_load_2addr_b32 v[5:6], v151 offset1:108
	ds_load_2addr_b32 v[12:13], v160 offset0:56 offset1:164
	s_clause 0x6
	scratch_load_b32 v24, off, off offset:208 th:TH_LOAD_LU
	scratch_load_b32 v25, off, off offset:212 th:TH_LOAD_LU
	;; [unrolled: 1-line block ×7, first 2 shown]
	s_wait_dscnt 0x1
	v_lshrrev_b32_e32 v14, 16, v5
	s_wait_dscnt 0x0
	v_lshrrev_b32_e32 v20, 16, v12
	s_wait_loadcnt 0xa
	v_mul_f16_e32 v0, v17, v5
	s_wait_loadcnt 0x9
	s_delay_alu instid0(VALU_DEP_1) | instskip(NEXT) | instid1(VALU_DEP_1)
	v_fma_f16 v0, v18, v14, -v0
	v_cvt_f32_f16_e32 v0, v0
	s_delay_alu instid0(VALU_DEP_1) | instskip(SKIP_1) | instid1(VALU_DEP_1)
	v_cvt_f64_f32_e32 v[0:1], v0
	s_wait_alu 0xfffe
	v_mul_f64_e32 v[7:8], s[10:11], v[0:1]
	s_delay_alu instid0(VALU_DEP_1) | instskip(SKIP_3) | instid1(VALU_DEP_4)
	v_and_or_b32 v0, 0x1ff, v8, v7
	v_lshrrev_b32_e32 v1, 8, v8
	v_bfe_u32 v15, v8, 20, 11
	v_lshrrev_b32_e32 v8, 16, v8
	v_cmp_ne_u32_e32 vcc_lo, 0, v0
	s_wait_alu 0xfffd
	v_cndmask_b32_e64 v0, 0, 1, vcc_lo
	s_delay_alu instid0(VALU_DEP_1) | instskip(SKIP_2) | instid1(VALU_DEP_3)
	v_and_or_b32 v7, 0xffe, v1, v0
	v_sub_nc_u32_e32 v0, 0x3f1, v15
	v_add_nc_u32_e32 v15, 0xfffffc10, v15
	v_or_b32_e32 v1, 0x1000, v7
	s_delay_alu instid0(VALU_DEP_3) | instskip(NEXT) | instid1(VALU_DEP_1)
	v_med3_i32 v0, v0, 0, 13
	v_lshrrev_b32_e32 v16, v0, v1
	s_delay_alu instid0(VALU_DEP_1) | instskip(NEXT) | instid1(VALU_DEP_1)
	v_lshlrev_b32_e32 v0, v0, v16
	v_cmp_ne_u32_e32 vcc_lo, v0, v1
	s_wait_loadcnt 0x8
	v_mul_f16_e32 v0, v26, v12
	s_wait_loadcnt 0x7
	s_delay_alu instid0(VALU_DEP_1)
	v_fma_f16 v0, v27, v20, -v0
	v_mul_f16_e32 v20, v26, v20
	scratch_load_b32 v26, off, off offset:176 th:TH_LOAD_LU ; 4-byte Folded Reload
	v_cvt_f32_f16_e32 v0, v0
	v_fmac_f16_e32 v20, v27, v12
	scratch_load_b32 v27, off, off offset:180 th:TH_LOAD_LU ; 4-byte Folded Reload
	v_cvt_f64_f32_e32 v[0:1], v0
	s_delay_alu instid0(VALU_DEP_1) | instskip(NEXT) | instid1(VALU_DEP_1)
	v_mul_f64_e32 v[1:2], s[10:11], v[0:1]
	v_and_or_b32 v0, 0x1ff, v2, v1
	v_lshrrev_b32_e32 v1, 8, v2
	v_bfe_u32 v10, v2, 20, 11
	v_lshrrev_b32_e32 v2, 16, v2
	s_delay_alu instid0(VALU_DEP_4) | instskip(SKIP_1) | instid1(VALU_DEP_1)
	v_cmp_ne_u32_e64 s0, 0, v0
	s_wait_alu 0xf1ff
	v_cndmask_b32_e64 v0, 0, 1, s0
	s_delay_alu instid0(VALU_DEP_1) | instskip(SKIP_2) | instid1(VALU_DEP_3)
	v_and_or_b32 v9, 0xffe, v1, v0
	v_sub_nc_u32_e32 v0, 0x3f1, v10
	v_add_nc_u32_e32 v10, 0xfffffc10, v10
	v_or_b32_e32 v1, 0x1000, v9
	s_delay_alu instid0(VALU_DEP_3) | instskip(NEXT) | instid1(VALU_DEP_1)
	v_med3_i32 v0, v0, 0, 13
	v_lshrrev_b32_e32 v11, v0, v1
	s_delay_alu instid0(VALU_DEP_1) | instskip(NEXT) | instid1(VALU_DEP_1)
	v_lshlrev_b32_e32 v0, v0, v11
	v_cmp_ne_u32_e64 s0, v0, v1
	v_mul_f16_e32 v0, v17, v14
	s_clause 0x1
	scratch_load_b32 v14, off, off offset:228 th:TH_LOAD_LU
	scratch_load_b32 v17, off, off offset:224 th:TH_LOAD_LU
	v_lshrrev_b32_e32 v1, 16, v6
	v_fmac_f16_e32 v0, v18, v5
	s_delay_alu instid0(VALU_DEP_1) | instskip(SKIP_1) | instid1(VALU_DEP_3)
	v_cvt_f32_f16_e32 v0, v0
	s_wait_loadcnt 0x1
	v_mul_f16_e32 v5, v14, v1
	v_mul_f16_e32 v14, v14, v6
	s_wait_loadcnt 0x0
	s_delay_alu instid0(VALU_DEP_2) | instskip(NEXT) | instid1(VALU_DEP_2)
	v_fmac_f16_e32 v5, v17, v6
	v_fma_f16 v6, v17, v1, -v14
	v_cvt_f64_f32_e32 v[0:1], v0
	s_delay_alu instid0(VALU_DEP_3) | instskip(NEXT) | instid1(VALU_DEP_2)
	v_cvt_f32_f16_e32 v5, v5
	v_mul_f64_e32 v[0:1], s[10:11], v[0:1]
	s_delay_alu instid0(VALU_DEP_1) | instskip(SKIP_1) | instid1(VALU_DEP_2)
	v_and_or_b32 v0, 0x1ff, v1, v0
	v_lshrrev_b32_e32 v14, 8, v1
	v_cmp_ne_u32_e64 s1, 0, v0
	s_wait_alu 0xf1ff
	s_delay_alu instid0(VALU_DEP_1) | instskip(NEXT) | instid1(VALU_DEP_1)
	v_cndmask_b32_e64 v0, 0, 1, s1
	v_and_or_b32 v0, 0xffe, v14, v0
	v_bfe_u32 v14, v1, 20, 11
	v_lshrrev_b32_e32 v1, 16, v1
	s_delay_alu instid0(VALU_DEP_3) | instskip(NEXT) | instid1(VALU_DEP_3)
	v_or_b32_e32 v18, 0x1000, v0
	v_sub_nc_u32_e32 v17, 0x3f1, v14
	v_add_nc_u32_e32 v14, 0xfffffc10, v14
	v_cmp_ne_u32_e64 s2, 0, v0
	s_delay_alu instid0(VALU_DEP_3) | instskip(NEXT) | instid1(VALU_DEP_1)
	v_med3_i32 v17, v17, 0, 13
	v_lshrrev_b32_e32 v19, v17, v18
	s_delay_alu instid0(VALU_DEP_1) | instskip(NEXT) | instid1(VALU_DEP_1)
	v_lshlrev_b32_e32 v17, v17, v19
	v_cmp_ne_u32_e64 s1, v17, v18
	v_lshl_or_b32 v18, v14, 12, v0
	s_wait_alu 0xf1ff
	s_delay_alu instid0(VALU_DEP_2) | instskip(SKIP_1) | instid1(VALU_DEP_2)
	v_cndmask_b32_e64 v17, 0, 1, s1
	v_cmp_gt_i32_e64 s1, 1, v14
	v_or_b32_e32 v17, v19, v17
	s_wait_alu 0xf1ff
	s_delay_alu instid0(VALU_DEP_1) | instskip(SKIP_3) | instid1(VALU_DEP_2)
	v_cndmask_b32_e64 v17, v18, v17, s1
	s_wait_alu 0xfffd
	v_cndmask_b32_e64 v18, 0, 1, vcc_lo
	v_cmp_gt_i32_e32 vcc_lo, 1, v15
	v_or_b32_e32 v16, v16, v18
	v_lshl_or_b32 v18, v15, 12, v7
	s_wait_alu 0xfffd
	s_delay_alu instid0(VALU_DEP_1) | instskip(SKIP_1) | instid1(VALU_DEP_2)
	v_cndmask_b32_e32 v16, v18, v16, vcc_lo
	v_and_b32_e32 v18, 7, v17
	v_and_b32_e32 v0, 7, v16
	s_delay_alu instid0(VALU_DEP_2) | instskip(SKIP_1) | instid1(VALU_DEP_3)
	v_cmp_lt_i32_e32 vcc_lo, 5, v18
	v_cmp_eq_u32_e64 s1, 3, v18
	v_cmp_lt_i32_e64 s3, 5, v0
	v_cmp_eq_u32_e64 s4, 3, v0
	v_lshrrev_b32_e32 v0, 2, v17
	s_delay_alu instid0(VALU_DEP_4) | instskip(SKIP_1) | instid1(VALU_DEP_3)
	s_or_b32 vcc_lo, s1, vcc_lo
	v_cndmask_b32_e64 v17, 0, 1, s2
	s_or_b32 s1, s4, s3
	s_wait_alu 0xfffe
	v_add_co_ci_u32_e32 v0, vcc_lo, 0, v0, vcc_lo
	v_cmp_gt_i32_e32 vcc_lo, 31, v14
	v_lshl_or_b32 v17, v17, 9, 0x7c00
	s_wait_alu 0xfffd
	s_delay_alu instid0(VALU_DEP_3) | instskip(SKIP_2) | instid1(VALU_DEP_2)
	v_cndmask_b32_e32 v0, 0x7c00, v0, vcc_lo
	v_cmp_eq_u32_e32 vcc_lo, 0x40f, v14
	s_wait_alu 0xfffd
	v_cndmask_b32_e32 v0, v0, v17, vcc_lo
	v_cmp_ne_u32_e32 vcc_lo, 0, v7
	v_lshrrev_b32_e32 v7, 2, v16
	ds_load_2addr_b32 v[16:17], v159 offset0:112 offset1:220
	v_and_or_b32 v0, 0x8000, v1, v0
	s_wait_alu 0xfffd
	v_cndmask_b32_e64 v14, 0, 1, vcc_lo
	v_add_co_ci_u32_e64 v7, s1, 0, v7, s1
	v_cmp_gt_i32_e64 s1, 31, v15
	v_cmp_eq_u32_e32 vcc_lo, 0x40f, v15
	s_delay_alu instid0(VALU_DEP_4) | instskip(SKIP_4) | instid1(VALU_DEP_1)
	v_lshl_or_b32 v14, v14, 9, 0x7c00
	v_and_b32_e32 v0, 0xffff, v0
	s_wait_alu 0xf1ff
	v_cndmask_b32_e64 v7, 0x7c00, v7, s1
	s_wait_alu 0xfffd
	v_cndmask_b32_e32 v7, v7, v14, vcc_lo
	v_add_co_u32 v14, vcc_lo, v3, s14
	s_wait_alu 0xfffd
	v_add_co_ci_u32_e32 v15, vcc_lo, s15, v4, vcc_lo
	s_delay_alu instid0(VALU_DEP_3) | instskip(SKIP_2) | instid1(VALU_DEP_2)
	v_and_or_b32 v1, 0x8000, v8, v7
	s_wait_dscnt 0x0
	v_lshrrev_b32_e32 v21, 16, v16
	v_lshl_or_b32 v0, v1, 16, v0
	global_store_b32 v[3:4], v0, off
	v_mul_f16_e32 v0, v24, v16
	scratch_load_b32 v3, off, off offset:200 th:TH_LOAD_LU ; 4-byte Folded Reload
	v_fma_f16 v0, v25, v21, -v0
	v_mul_f16_e32 v21, v24, v21
	s_delay_alu instid0(VALU_DEP_2) | instskip(NEXT) | instid1(VALU_DEP_2)
	v_cvt_f32_f16_e32 v0, v0
	v_fmac_f16_e32 v21, v25, v16
	scratch_load_b32 v16, off, off offset:192 th:TH_LOAD_LU ; 4-byte Folded Reload
	v_cvt_f64_f32_e32 v[0:1], v0
	s_delay_alu instid0(VALU_DEP_1) | instskip(NEXT) | instid1(VALU_DEP_1)
	v_mul_f64_e32 v[18:19], s[10:11], v[0:1]
	v_and_or_b32 v0, 0x1ff, v19, v18
	v_lshrrev_b32_e32 v1, 8, v19
	v_bfe_u32 v22, v19, 20, 11
	s_delay_alu instid0(VALU_DEP_3) | instskip(SKIP_2) | instid1(VALU_DEP_1)
	v_cmp_ne_u32_e32 vcc_lo, 0, v0
	s_wait_alu 0xfffd
	v_cndmask_b32_e64 v0, 0, 1, vcc_lo
	v_and_or_b32 v18, 0xffe, v1, v0
	v_sub_nc_u32_e32 v0, 0x3f1, v22
	s_delay_alu instid0(VALU_DEP_2) | instskip(NEXT) | instid1(VALU_DEP_2)
	v_or_b32_e32 v1, 0x1000, v18
	v_med3_i32 v0, v0, 0, 13
	s_delay_alu instid0(VALU_DEP_1) | instskip(NEXT) | instid1(VALU_DEP_1)
	v_lshrrev_b32_e32 v23, v0, v1
	v_lshlrev_b32_e32 v0, v0, v23
	s_delay_alu instid0(VALU_DEP_1) | instskip(SKIP_3) | instid1(VALU_DEP_1)
	v_cmp_ne_u32_e64 s1, v0, v1
	scratch_load_b32 v1, off, off offset:204 th:TH_LOAD_LU ; 4-byte Folded Reload
	v_lshrrev_b32_e32 v0, 16, v13
	s_wait_loadcnt 0x0
	v_mul_f16_e32 v4, v1, v0
	v_mul_f16_e32 v1, v1, v13
	s_delay_alu instid0(VALU_DEP_2) | instskip(SKIP_4) | instid1(VALU_DEP_2)
	v_fmac_f16_e32 v4, v3, v13
	scratch_load_b32 v13, off, off offset:196 th:TH_LOAD_LU ; 4-byte Folded Reload
	v_fma_f16 v3, v3, v0, -v1
	v_cvt_f32_f16_e32 v0, v6
	v_cvt_f32_f16_e32 v4, v4
	v_cvt_f64_f32_e32 v[0:1], v0
	s_delay_alu instid0(VALU_DEP_1) | instskip(NEXT) | instid1(VALU_DEP_1)
	v_mul_f64_e32 v[0:1], s[10:11], v[0:1]
	v_and_or_b32 v0, 0x1ff, v1, v0
	v_lshrrev_b32_e32 v6, 8, v1
	v_bfe_u32 v7, v1, 20, 11
	v_lshrrev_b32_e32 v1, 16, v1
	s_delay_alu instid0(VALU_DEP_4) | instskip(SKIP_2) | instid1(VALU_DEP_1)
	v_cmp_ne_u32_e32 vcc_lo, 0, v0
	s_wait_alu 0xfffd
	v_cndmask_b32_e64 v0, 0, 1, vcc_lo
	v_and_or_b32 v0, 0xffe, v6, v0
	v_sub_nc_u32_e32 v6, 0x3f1, v7
	v_add_nc_u32_e32 v7, 0xfffffc10, v7
	s_delay_alu instid0(VALU_DEP_3) | instskip(NEXT) | instid1(VALU_DEP_3)
	v_or_b32_e32 v12, 0x1000, v0
	v_med3_i32 v6, v6, 0, 13
	v_cmp_ne_u32_e64 s6, 0, v0
	s_delay_alu instid0(VALU_DEP_2) | instskip(NEXT) | instid1(VALU_DEP_1)
	v_lshrrev_b32_e32 v8, v6, v12
	v_lshlrev_b32_e32 v6, v6, v8
	s_delay_alu instid0(VALU_DEP_1) | instskip(SKIP_2) | instid1(VALU_DEP_1)
	v_cmp_ne_u32_e32 vcc_lo, v6, v12
	v_lshrrev_b32_e32 v12, 16, v17
	s_wait_loadcnt 0x0
	v_mul_f16_e32 v6, v13, v12
	v_mul_f16_e32 v13, v13, v17
	s_delay_alu instid0(VALU_DEP_2) | instskip(NEXT) | instid1(VALU_DEP_2)
	v_fmac_f16_e32 v6, v16, v17
	v_fma_f16 v16, v16, v12, -v13
	v_cvt_f32_f16_e32 v12, v20
	s_delay_alu instid0(VALU_DEP_3) | instskip(NEXT) | instid1(VALU_DEP_2)
	v_cvt_f32_f16_e32 v6, v6
	v_cvt_f64_f32_e32 v[12:13], v12
	s_delay_alu instid0(VALU_DEP_1) | instskip(NEXT) | instid1(VALU_DEP_1)
	v_mul_f64_e32 v[12:13], s[10:11], v[12:13]
	v_and_or_b32 v12, 0x1ff, v13, v12
	v_lshrrev_b32_e32 v17, 8, v13
	s_delay_alu instid0(VALU_DEP_2) | instskip(SKIP_1) | instid1(VALU_DEP_1)
	v_cmp_ne_u32_e64 s2, 0, v12
	s_wait_alu 0xf1ff
	v_cndmask_b32_e64 v12, 0, 1, s2
	s_delay_alu instid0(VALU_DEP_1) | instskip(SKIP_2) | instid1(VALU_DEP_3)
	v_and_or_b32 v12, 0xffe, v17, v12
	v_bfe_u32 v17, v13, 20, 11
	v_lshrrev_b32_e32 v13, 16, v13
	v_or_b32_e32 v24, 0x1000, v12
	s_delay_alu instid0(VALU_DEP_3) | instskip(SKIP_2) | instid1(VALU_DEP_3)
	v_sub_nc_u32_e32 v20, 0x3f1, v17
	v_add_nc_u32_e32 v17, 0xfffffc10, v17
	v_cmp_ne_u32_e64 s4, 0, v12
	v_med3_i32 v20, v20, 0, 13
	s_delay_alu instid0(VALU_DEP_1) | instskip(NEXT) | instid1(VALU_DEP_1)
	v_lshrrev_b32_e32 v25, v20, v24
	v_lshlrev_b32_e32 v20, v20, v25
	s_delay_alu instid0(VALU_DEP_1)
	v_cmp_ne_u32_e64 s2, v20, v24
	v_lshl_or_b32 v24, v17, 12, v12
	v_cndmask_b32_e64 v12, 0, 1, s0
	v_cmp_gt_i32_e64 s0, 1, v10
	s_wait_alu 0xf1ff
	v_cndmask_b32_e64 v20, 0, 1, s2
	v_cmp_gt_i32_e64 s2, 1, v17
	v_or_b32_e32 v11, v11, v12
	v_lshl_or_b32 v12, v10, 12, v9
	s_delay_alu instid0(VALU_DEP_4) | instskip(SKIP_4) | instid1(VALU_DEP_1)
	v_or_b32_e32 v20, v25, v20
	scratch_load_b32 v25, off, off offset:188 th:TH_LOAD_LU ; 4-byte Folded Reload
	v_cndmask_b32_e64 v11, v12, v11, s0
	s_wait_alu 0xf1ff
	v_cndmask_b32_e64 v20, v24, v20, s2
	v_and_b32_e32 v24, 7, v20
	v_lshrrev_b32_e32 v12, 2, v20
	v_cndmask_b32_e64 v20, 0, 1, s4
	s_delay_alu instid0(VALU_DEP_3) | instskip(SKIP_1) | instid1(VALU_DEP_3)
	v_cmp_lt_i32_e64 s2, 5, v24
	v_cmp_eq_u32_e64 s3, 3, v24
	v_lshl_or_b32 v20, v20, 9, 0x7c00
	scratch_load_b32 v24, off, off offset:184 th:TH_LOAD_LU ; 4-byte Folded Reload
	s_or_b32 s0, s3, s2
	v_cmp_ne_u32_e64 s3, 0, v9
	s_wait_alu 0xfffe
	v_add_co_ci_u32_e64 v12, s0, 0, v12, s0
	v_cmp_gt_i32_e64 s0, 31, v17
	v_lshrrev_b32_e32 v9, 2, v11
	s_wait_alu 0xf1ff
	s_delay_alu instid0(VALU_DEP_2) | instskip(SKIP_4) | instid1(VALU_DEP_3)
	v_cndmask_b32_e64 v12, 0x7c00, v12, s0
	v_cmp_eq_u32_e64 s0, 0x40f, v17
	v_and_b32_e32 v17, 7, v11
	v_cndmask_b32_e64 v11, 0, 1, s3
	s_wait_alu 0xf1ff
	v_cndmask_b32_e64 v12, v12, v20, s0
	s_delay_alu instid0(VALU_DEP_3) | instskip(SKIP_2) | instid1(VALU_DEP_2)
	v_cmp_lt_i32_e64 s0, 5, v17
	v_cmp_eq_u32_e64 s2, 3, v17
	v_lshl_or_b32 v11, v11, 9, 0x7c00
	s_or_b32 s0, s2, s0
	s_wait_alu 0xfffe
	v_add_co_ci_u32_e64 v9, s0, 0, v9, s0
	v_cmp_gt_i32_e64 s0, 31, v10
	s_wait_alu 0xf1ff
	s_delay_alu instid0(VALU_DEP_1) | instskip(SKIP_3) | instid1(VALU_DEP_2)
	v_cndmask_b32_e64 v9, 0x7c00, v9, s0
	v_cmp_eq_u32_e64 s0, 0x40f, v10
	v_and_or_b32 v10, 0x8000, v13, v12
	s_wait_alu 0xf1ff
	v_cndmask_b32_e64 v9, v9, v11, s0
	s_delay_alu instid0(VALU_DEP_1) | instskip(NEXT) | instid1(VALU_DEP_3)
	v_and_or_b32 v2, 0x8000, v2, v9
	v_and_b32_e32 v9, 0xffff, v10
	s_delay_alu instid0(VALU_DEP_1)
	v_lshl_or_b32 v2, v2, 16, v9
	v_add_co_u32 v9, s0, v14, s14
	s_wait_alu 0xf1ff
	v_add_co_ci_u32_e64 v10, s0, s15, v15, s0
	global_store_b32 v[14:15], v2, off
	v_cvt_f32_f16_e32 v2, v21
	s_delay_alu instid0(VALU_DEP_1) | instskip(NEXT) | instid1(VALU_DEP_1)
	v_cvt_f64_f32_e32 v[11:12], v2
	v_mul_f64_e32 v[11:12], s[10:11], v[11:12]
	s_delay_alu instid0(VALU_DEP_1) | instskip(SKIP_1) | instid1(VALU_DEP_2)
	v_and_or_b32 v2, 0x1ff, v12, v11
	v_lshrrev_b32_e32 v11, 8, v12
	v_cmp_ne_u32_e64 s0, 0, v2
	s_wait_alu 0xf1ff
	s_delay_alu instid0(VALU_DEP_1) | instskip(NEXT) | instid1(VALU_DEP_1)
	v_cndmask_b32_e64 v2, 0, 1, s0
	v_and_or_b32 v2, 0xffe, v11, v2
	v_bfe_u32 v11, v12, 20, 11
	v_lshrrev_b32_e32 v12, 16, v12
	s_delay_alu instid0(VALU_DEP_3) | instskip(NEXT) | instid1(VALU_DEP_3)
	v_or_b32_e32 v14, 0x1000, v2
	v_sub_nc_u32_e32 v13, 0x3f1, v11
	v_add_nc_u32_e32 v11, 0xfffffc10, v11
	v_cmp_ne_u32_e64 s3, 0, v2
	s_delay_alu instid0(VALU_DEP_3) | instskip(NEXT) | instid1(VALU_DEP_1)
	v_med3_i32 v13, v13, 0, 13
	v_lshrrev_b32_e32 v15, v13, v14
	s_delay_alu instid0(VALU_DEP_1) | instskip(NEXT) | instid1(VALU_DEP_1)
	v_lshlrev_b32_e32 v13, v13, v15
	v_cmp_ne_u32_e64 s0, v13, v14
	v_lshl_or_b32 v14, v11, 12, v2
	v_cndmask_b32_e64 v2, 0, 1, s1
	s_wait_alu 0xf1ff
	s_delay_alu instid0(VALU_DEP_3) | instskip(SKIP_1) | instid1(VALU_DEP_3)
	v_cndmask_b32_e64 v13, 0, 1, s0
	v_cmp_gt_i32_e64 s0, 1, v11
	v_or_b32_e32 v2, v23, v2
	s_delay_alu instid0(VALU_DEP_3) | instskip(SKIP_1) | instid1(VALU_DEP_1)
	v_or_b32_e32 v13, v15, v13
	s_wait_alu 0xf1ff
	v_cndmask_b32_e64 v13, v14, v13, s0
	s_delay_alu instid0(VALU_DEP_1) | instskip(SKIP_1) | instid1(VALU_DEP_2)
	v_and_b32_e32 v14, 7, v13
	v_lshrrev_b32_e32 v13, 2, v13
	v_cmp_lt_i32_e64 s0, 5, v14
	v_cmp_eq_u32_e64 s2, 3, v14
	v_add_nc_u32_e32 v14, 0xfffffc10, v22
	s_delay_alu instid0(VALU_DEP_2) | instskip(NEXT) | instid1(VALU_DEP_1)
	s_or_b32 s0, s2, s0
	v_lshl_or_b32 v15, v14, 12, v18
	v_cmp_gt_i32_e64 s1, 1, v14
	s_wait_alu 0xfffe
	v_add_co_ci_u32_e64 v13, s0, 0, v13, s0
	v_cmp_gt_i32_e64 s0, 31, v11
	v_cmp_ne_u32_e64 s2, 0, v18
	s_wait_alu 0xf1ff
	v_cndmask_b32_e64 v2, v15, v2, s1
	v_cndmask_b32_e64 v15, 0, 1, s3
	;; [unrolled: 1-line block ×3, first 2 shown]
	v_cmp_eq_u32_e64 s0, 0x40f, v11
	s_delay_alu instid0(VALU_DEP_3) | instskip(SKIP_1) | instid1(VALU_DEP_1)
	v_lshl_or_b32 v15, v15, 9, 0x7c00
	s_wait_alu 0xf1ff
	v_cndmask_b32_e64 v11, v13, v15, s0
	v_and_b32_e32 v13, 7, v2
	v_lshrrev_b32_e32 v2, 2, v2
	s_delay_alu instid0(VALU_DEP_3) | instskip(NEXT) | instid1(VALU_DEP_3)
	v_and_or_b32 v11, 0x8000, v12, v11
	v_cmp_lt_i32_e64 s0, 5, v13
	v_cmp_eq_u32_e64 s1, 3, v13
	v_cndmask_b32_e64 v13, 0, 1, s2
	s_delay_alu instid0(VALU_DEP_4) | instskip(NEXT) | instid1(VALU_DEP_3)
	v_and_b32_e32 v11, 0xffff, v11
	s_or_b32 s0, s1, s0
	s_delay_alu instid0(VALU_DEP_2) | instskip(SKIP_4) | instid1(VALU_DEP_1)
	v_lshl_or_b32 v13, v13, 9, 0x7c00
	s_wait_alu 0xfffe
	v_add_co_ci_u32_e64 v2, s0, 0, v2, s0
	v_cmp_gt_i32_e64 s0, 31, v14
	s_wait_alu 0xf1ff
	v_cndmask_b32_e64 v2, 0x7c00, v2, s0
	v_cmp_eq_u32_e64 s0, 0x40f, v14
	s_wait_alu 0xf1ff
	s_delay_alu instid0(VALU_DEP_1) | instskip(SKIP_1) | instid1(VALU_DEP_1)
	v_cndmask_b32_e64 v2, v2, v13, s0
	v_lshrrev_b32_e32 v13, 16, v19
	v_and_or_b32 v2, 0x8000, v13, v2
	s_delay_alu instid0(VALU_DEP_1)
	v_lshl_or_b32 v2, v2, 16, v11
	v_add_co_u32 v11, s0, v9, s8
	s_wait_alu 0xf1ff
	v_add_co_ci_u32_e64 v12, s0, s9, v10, s0
	global_store_b32 v[9:10], v2, off
	v_cvt_f32_f16_e32 v2, v3
	s_delay_alu instid0(VALU_DEP_1) | instskip(NEXT) | instid1(VALU_DEP_1)
	v_cvt_f64_f32_e32 v[2:3], v2
	v_mul_f64_e32 v[13:14], s[10:11], v[2:3]
	s_delay_alu instid0(VALU_DEP_1) | instskip(SKIP_2) | instid1(VALU_DEP_3)
	v_and_or_b32 v2, 0x1ff, v14, v13
	v_lshrrev_b32_e32 v3, 8, v14
	v_bfe_u32 v17, v14, 20, 11
	v_cmp_ne_u32_e64 s0, 0, v2
	s_wait_alu 0xf1ff
	s_delay_alu instid0(VALU_DEP_1) | instskip(NEXT) | instid1(VALU_DEP_1)
	v_cndmask_b32_e64 v2, 0, 1, s0
	v_and_or_b32 v13, 0xffe, v3, v2
	v_sub_nc_u32_e32 v2, 0x3f1, v17
	s_delay_alu instid0(VALU_DEP_2) | instskip(NEXT) | instid1(VALU_DEP_2)
	v_or_b32_e32 v3, 0x1000, v13
	v_med3_i32 v2, v2, 0, 13
	s_delay_alu instid0(VALU_DEP_1) | instskip(NEXT) | instid1(VALU_DEP_1)
	v_lshrrev_b32_e32 v18, v2, v3
	v_lshlrev_b32_e32 v2, v2, v18
	s_delay_alu instid0(VALU_DEP_1) | instskip(SKIP_1) | instid1(VALU_DEP_1)
	v_cmp_ne_u32_e64 s1, v2, v3
	v_cvt_f32_f16_e32 v2, v16
	v_cvt_f64_f32_e32 v[2:3], v2
	s_delay_alu instid0(VALU_DEP_1) | instskip(NEXT) | instid1(VALU_DEP_1)
	v_mul_f64_e32 v[2:3], s[10:11], v[2:3]
	v_and_or_b32 v2, 0x1ff, v3, v2
	v_lshrrev_b32_e32 v9, 8, v3
	s_delay_alu instid0(VALU_DEP_2) | instskip(SKIP_1) | instid1(VALU_DEP_1)
	v_cmp_ne_u32_e64 s0, 0, v2
	s_wait_alu 0xf1ff
	v_cndmask_b32_e64 v2, 0, 1, s0
	s_delay_alu instid0(VALU_DEP_1) | instskip(SKIP_2) | instid1(VALU_DEP_3)
	v_and_or_b32 v2, 0xffe, v9, v2
	v_bfe_u32 v9, v3, 20, 11
	v_lshrrev_b32_e32 v3, 16, v3
	v_or_b32_e32 v16, 0x1000, v2
	s_delay_alu instid0(VALU_DEP_3) | instskip(SKIP_1) | instid1(VALU_DEP_2)
	v_sub_nc_u32_e32 v10, 0x3f1, v9
	v_add_nc_u32_e32 v9, 0xfffffc10, v9
	v_med3_i32 v15, v10, 0, 13
	s_delay_alu instid0(VALU_DEP_1) | instskip(NEXT) | instid1(VALU_DEP_1)
	v_lshrrev_b32_e32 v10, v15, v16
	v_lshlrev_b32_e32 v15, v15, v10
	s_delay_alu instid0(VALU_DEP_1) | instskip(SKIP_1) | instid1(VALU_DEP_1)
	v_cmp_ne_u32_e64 s0, v15, v16
	v_cvt_f64_f32_e32 v[15:16], v5
	v_mul_f64_e32 v[15:16], s[10:11], v[15:16]
	s_delay_alu instid0(VALU_DEP_1) | instskip(SKIP_1) | instid1(VALU_DEP_2)
	v_and_or_b32 v5, 0x1ff, v16, v15
	v_lshrrev_b32_e32 v15, 8, v16
	v_cmp_ne_u32_e64 s2, 0, v5
	s_wait_alu 0xf1ff
	s_delay_alu instid0(VALU_DEP_1) | instskip(NEXT) | instid1(VALU_DEP_1)
	v_cndmask_b32_e64 v5, 0, 1, s2
	v_and_or_b32 v5, 0xffe, v15, v5
	v_bfe_u32 v15, v16, 20, 11
	s_delay_alu instid0(VALU_DEP_2) | instskip(NEXT) | instid1(VALU_DEP_2)
	v_or_b32_e32 v20, 0x1000, v5
	v_sub_nc_u32_e32 v19, 0x3f1, v15
	v_add_nc_u32_e32 v15, 0xfffffc10, v15
	v_cmp_ne_u32_e64 s3, 0, v5
	s_delay_alu instid0(VALU_DEP_3) | instskip(NEXT) | instid1(VALU_DEP_1)
	v_med3_i32 v19, v19, 0, 13
	v_lshrrev_b32_e32 v21, v19, v20
	s_delay_alu instid0(VALU_DEP_1) | instskip(NEXT) | instid1(VALU_DEP_1)
	v_lshlrev_b32_e32 v19, v19, v21
	v_cmp_ne_u32_e64 s2, v19, v20
	v_lshl_or_b32 v20, v15, 12, v5
	s_wait_alu 0xf1ff
	s_delay_alu instid0(VALU_DEP_2) | instskip(SKIP_1) | instid1(VALU_DEP_2)
	v_cndmask_b32_e64 v19, 0, 1, s2
	v_cmp_gt_i32_e64 s2, 1, v15
	v_or_b32_e32 v19, v21, v19
	s_wait_alu 0xf1ff
	s_delay_alu instid0(VALU_DEP_1) | instskip(SKIP_3) | instid1(VALU_DEP_2)
	v_cndmask_b32_e64 v19, v20, v19, s2
	s_wait_alu 0xfffd
	v_cndmask_b32_e64 v20, 0, 1, vcc_lo
	v_cmp_gt_i32_e32 vcc_lo, 1, v7
	v_or_b32_e32 v8, v8, v20
	v_lshl_or_b32 v20, v7, 12, v0
	v_lshrrev_b32_e32 v0, 2, v19
	s_wait_alu 0xfffd
	s_delay_alu instid0(VALU_DEP_2) | instskip(SKIP_1) | instid1(VALU_DEP_2)
	v_cndmask_b32_e32 v8, v20, v8, vcc_lo
	v_and_b32_e32 v20, 7, v19
	v_and_b32_e32 v5, 7, v8
	s_delay_alu instid0(VALU_DEP_2) | instskip(SKIP_2) | instid1(VALU_DEP_4)
	v_cmp_lt_i32_e32 vcc_lo, 5, v20
	v_cmp_eq_u32_e64 s2, 3, v20
	v_lshrrev_b32_e32 v8, 2, v8
	v_cmp_lt_i32_e64 s4, 5, v5
	v_cmp_eq_u32_e64 s5, 3, v5
	s_delay_alu instid0(VALU_DEP_4) | instskip(SKIP_4) | instid1(VALU_DEP_3)
	s_or_b32 vcc_lo, s2, vcc_lo
	v_cndmask_b32_e64 v5, 0, 1, s3
	s_wait_alu 0xfffe
	v_add_co_ci_u32_e32 v0, vcc_lo, 0, v0, vcc_lo
	v_cmp_gt_i32_e32 vcc_lo, 31, v15
	v_lshl_or_b32 v5, v5, 9, 0x7c00
	s_wait_alu 0xfffd
	s_delay_alu instid0(VALU_DEP_3) | instskip(SKIP_3) | instid1(VALU_DEP_3)
	v_cndmask_b32_e32 v0, 0x7c00, v0, vcc_lo
	v_cmp_eq_u32_e32 vcc_lo, 0x40f, v15
	v_cndmask_b32_e64 v15, 0, 1, s6
	s_wait_alu 0xfffd
	v_cndmask_b32_e32 v0, v0, v5, vcc_lo
	s_or_b32 vcc_lo, s5, s4
	s_delay_alu instid0(VALU_DEP_2)
	v_lshl_or_b32 v15, v15, 9, 0x7c00
	s_wait_alu 0xfffe
	v_add_co_ci_u32_e32 v8, vcc_lo, 0, v8, vcc_lo
	v_cmp_gt_i32_e32 vcc_lo, 31, v7
	v_lshrrev_b32_e32 v5, 16, v16
	s_wait_alu 0xfffd
	s_delay_alu instid0(VALU_DEP_3) | instskip(SKIP_1) | instid1(VALU_DEP_3)
	v_cndmask_b32_e32 v8, 0x7c00, v8, vcc_lo
	v_cmp_eq_u32_e32 vcc_lo, 0x40f, v7
	v_and_or_b32 v0, 0x8000, v5, v0
	s_wait_alu 0xfffd
	s_delay_alu instid0(VALU_DEP_3) | instskip(SKIP_3) | instid1(VALU_DEP_1)
	v_cndmask_b32_e32 v7, v8, v15, vcc_lo
	ds_load_2addr_b32 v[15:16], v113 offset0:88 offset1:196
	v_and_b32_e32 v0, 0xffff, v0
	v_and_or_b32 v1, 0x8000, v1, v7
	v_lshl_or_b32 v0, v1, 16, v0
	global_store_b32 v[11:12], v0, off
	v_add_co_u32 v11, vcc_lo, v11, s14
	s_wait_alu 0xfffd
	v_add_co_ci_u32_e32 v12, vcc_lo, s15, v12, vcc_lo
	s_wait_dscnt 0x0
	v_lshrrev_b32_e32 v21, 16, v15
	s_wait_loadcnt 0x0
	v_mul_f16_e32 v0, v24, v15
	s_delay_alu instid0(VALU_DEP_1) | instskip(SKIP_1) | instid1(VALU_DEP_2)
	v_fma_f16 v0, v25, v21, -v0
	v_mul_f16_e32 v21, v24, v21
	v_cvt_f32_f16_e32 v0, v0
	s_delay_alu instid0(VALU_DEP_2) | instskip(SKIP_2) | instid1(VALU_DEP_1)
	v_fmac_f16_e32 v21, v25, v15
	scratch_load_b32 v15, off, off offset:172 th:TH_LOAD_LU ; 4-byte Folded Reload
	v_cvt_f64_f32_e32 v[0:1], v0
	v_mul_f64_e32 v[0:1], s[10:11], v[0:1]
	s_delay_alu instid0(VALU_DEP_1) | instskip(SKIP_3) | instid1(VALU_DEP_4)
	v_and_or_b32 v0, 0x1ff, v1, v0
	v_lshrrev_b32_e32 v5, 8, v1
	v_bfe_u32 v7, v1, 20, 11
	v_lshrrev_b32_e32 v1, 16, v1
	v_cmp_ne_u32_e32 vcc_lo, 0, v0
	s_wait_alu 0xfffd
	v_cndmask_b32_e64 v0, 0, 1, vcc_lo
	s_delay_alu instid0(VALU_DEP_1) | instskip(SKIP_2) | instid1(VALU_DEP_3)
	v_and_or_b32 v0, 0xffe, v5, v0
	v_sub_nc_u32_e32 v5, 0x3f1, v7
	v_add_nc_u32_e32 v7, 0xfffffc10, v7
	v_or_b32_e32 v19, 0x1000, v0
	s_delay_alu instid0(VALU_DEP_3) | instskip(NEXT) | instid1(VALU_DEP_1)
	v_med3_i32 v5, v5, 0, 13
	v_lshrrev_b32_e32 v8, v5, v19
	s_delay_alu instid0(VALU_DEP_1) | instskip(NEXT) | instid1(VALU_DEP_1)
	v_lshlrev_b32_e32 v5, v5, v8
	v_cmp_ne_u32_e32 vcc_lo, v5, v19
	v_cvt_f64_f32_e32 v[4:5], v4
	s_delay_alu instid0(VALU_DEP_1) | instskip(NEXT) | instid1(VALU_DEP_1)
	v_mul_f64_e32 v[4:5], s[10:11], v[4:5]
	v_and_or_b32 v4, 0x1ff, v5, v4
	v_lshrrev_b32_e32 v19, 8, v5
	s_delay_alu instid0(VALU_DEP_2) | instskip(SKIP_1) | instid1(VALU_DEP_1)
	v_cmp_ne_u32_e64 s2, 0, v4
	s_wait_alu 0xf1ff
	v_cndmask_b32_e64 v4, 0, 1, s2
	s_delay_alu instid0(VALU_DEP_1) | instskip(SKIP_2) | instid1(VALU_DEP_3)
	v_and_or_b32 v4, 0xffe, v19, v4
	v_bfe_u32 v19, v5, 20, 11
	v_lshrrev_b32_e32 v5, 16, v5
	v_or_b32_e32 v22, 0x1000, v4
	s_delay_alu instid0(VALU_DEP_3) | instskip(SKIP_1) | instid1(VALU_DEP_2)
	v_sub_nc_u32_e32 v20, 0x3f1, v19
	v_add_nc_u32_e32 v19, 0xfffffc10, v19
	v_med3_i32 v20, v20, 0, 13
	s_delay_alu instid0(VALU_DEP_1) | instskip(NEXT) | instid1(VALU_DEP_1)
	v_lshrrev_b32_e32 v23, v20, v22
	v_lshlrev_b32_e32 v20, v20, v23
	s_delay_alu instid0(VALU_DEP_1) | instskip(SKIP_2) | instid1(VALU_DEP_2)
	v_cmp_ne_u32_e64 s2, v20, v22
	v_lshl_or_b32 v22, v19, 12, v4
	s_wait_alu 0xf1ff
	v_cndmask_b32_e64 v20, 0, 1, s2
	v_cmp_gt_i32_e64 s2, 1, v19
	s_delay_alu instid0(VALU_DEP_2) | instskip(SKIP_3) | instid1(VALU_DEP_1)
	v_or_b32_e32 v20, v23, v20
	scratch_load_b32 v23, off, off offset:168 th:TH_LOAD_LU ; 4-byte Folded Reload
	s_wait_alu 0xf1ff
	v_cndmask_b32_e64 v20, v22, v20, s2
	v_and_b32_e32 v22, 7, v20
	s_delay_alu instid0(VALU_DEP_1) | instskip(SKIP_4) | instid1(VALU_DEP_4)
	v_cmp_lt_i32_e64 s2, 5, v22
	v_cmp_eq_u32_e64 s3, 3, v22
	v_cndmask_b32_e64 v22, 0, 1, s1
	v_cmp_ne_u32_e64 s1, 0, v4
	v_add_nc_u32_e32 v4, 0xfffffc10, v17
	s_or_b32 s2, s3, s2
	s_delay_alu instid0(VALU_DEP_3) | instskip(SKIP_1) | instid1(VALU_DEP_3)
	v_or_b32_e32 v18, v18, v22
	v_cmp_ne_u32_e64 s3, 0, v13
	v_lshl_or_b32 v17, v4, 12, v13
	v_cmp_gt_i32_e64 s4, 1, v4
	s_wait_alu 0xf1ff
	s_delay_alu instid0(VALU_DEP_1) | instskip(SKIP_3) | instid1(VALU_DEP_4)
	v_cndmask_b32_e64 v17, v17, v18, s4
	v_lshrrev_b32_e32 v18, 2, v20
	v_cndmask_b32_e64 v20, 0, 1, s1
	v_cmp_eq_u32_e64 s1, 0x40f, v19
	v_lshrrev_b32_e32 v13, 2, v17
	s_wait_alu 0xfffe
	v_add_co_ci_u32_e64 v18, s2, 0, v18, s2
	v_cmp_gt_i32_e64 s2, 31, v19
	v_lshl_or_b32 v20, v20, 9, 0x7c00
	v_and_b32_e32 v19, 7, v17
	v_cndmask_b32_e64 v17, 0, 1, s3
	s_wait_alu 0xf1ff
	v_cndmask_b32_e64 v18, 0x7c00, v18, s2
	s_delay_alu instid0(VALU_DEP_3) | instskip(NEXT) | instid1(VALU_DEP_3)
	v_cmp_eq_u32_e64 s2, 3, v19
	v_lshl_or_b32 v17, v17, 9, 0x7c00
	s_delay_alu instid0(VALU_DEP_3)
	v_cndmask_b32_e64 v18, v18, v20, s1
	v_cmp_lt_i32_e64 s1, 5, v19
	ds_load_2addr_b32 v[19:20], v111 offset0:16 offset1:124
	v_and_or_b32 v5, 0x8000, v5, v18
	s_or_b32 s1, s2, s1
	s_wait_alu 0xfffe
	v_add_co_ci_u32_e64 v13, s1, 0, v13, s1
	v_cmp_gt_i32_e64 s1, 31, v4
	v_and_b32_e32 v5, 0xffff, v5
	s_wait_alu 0xf1ff
	s_delay_alu instid0(VALU_DEP_2) | instskip(SKIP_2) | instid1(VALU_DEP_1)
	v_cndmask_b32_e64 v13, 0x7c00, v13, s1
	v_cmp_eq_u32_e64 s1, 0x40f, v4
	s_wait_alu 0xf1ff
	v_cndmask_b32_e64 v4, v13, v17, s1
	v_lshrrev_b32_e32 v13, 16, v14
	s_wait_dscnt 0x0
	v_lshrrev_b32_e32 v22, 16, v19
	v_add_co_u32 v17, s1, v11, s14
	s_wait_alu 0xf1ff
	v_add_co_ci_u32_e64 v18, s1, s15, v12, s1
	v_and_or_b32 v4, 0x8000, v13, v4
	s_delay_alu instid0(VALU_DEP_1) | instskip(SKIP_2) | instid1(VALU_DEP_1)
	v_lshl_or_b32 v4, v4, 16, v5
	global_store_b32 v[11:12], v4, off
	v_mul_f16_e32 v4, v26, v19
	v_fma_f16 v4, v27, v22, -v4
	v_mul_f16_e32 v22, v26, v22
	s_delay_alu instid0(VALU_DEP_2) | instskip(NEXT) | instid1(VALU_DEP_2)
	v_cvt_f32_f16_e32 v4, v4
	v_fmac_f16_e32 v22, v27, v19
	scratch_load_b32 v19, off, off offset:152 th:TH_LOAD_LU ; 4-byte Folded Reload
	v_cvt_f64_f32_e32 v[4:5], v4
	s_delay_alu instid0(VALU_DEP_1) | instskip(NEXT) | instid1(VALU_DEP_1)
	v_mul_f64_e32 v[4:5], s[10:11], v[4:5]
	v_and_or_b32 v4, 0x1ff, v5, v4
	v_lshrrev_b32_e32 v11, 8, v5
	v_bfe_u32 v12, v5, 20, 11
	v_lshrrev_b32_e32 v5, 16, v5
	s_delay_alu instid0(VALU_DEP_4) | instskip(SKIP_1) | instid1(VALU_DEP_1)
	v_cmp_ne_u32_e64 s1, 0, v4
	s_wait_alu 0xf1ff
	v_cndmask_b32_e64 v4, 0, 1, s1
	s_delay_alu instid0(VALU_DEP_1) | instskip(SKIP_2) | instid1(VALU_DEP_3)
	v_and_or_b32 v11, 0xffe, v11, v4
	v_sub_nc_u32_e32 v4, 0x3f1, v12
	v_add_nc_u32_e32 v12, 0xfffffc10, v12
	v_or_b32_e32 v14, 0x1000, v11
	s_delay_alu instid0(VALU_DEP_3) | instskip(NEXT) | instid1(VALU_DEP_1)
	v_med3_i32 v4, v4, 0, 13
	v_lshrrev_b32_e32 v13, v4, v14
	s_delay_alu instid0(VALU_DEP_1) | instskip(NEXT) | instid1(VALU_DEP_1)
	v_lshlrev_b32_e32 v4, v4, v13
	v_cmp_ne_u32_e64 s1, v4, v14
	v_lshrrev_b32_e32 v14, 16, v16
	s_wait_loadcnt 0x2
	s_delay_alu instid0(VALU_DEP_1) | instskip(SKIP_2) | instid1(VALU_DEP_2)
	v_mul_f16_e32 v4, v15, v14
	v_mul_f16_e32 v15, v15, v16
	s_wait_loadcnt 0x1
	v_fmac_f16_e32 v4, v23, v16
	s_delay_alu instid0(VALU_DEP_2) | instskip(SKIP_1) | instid1(VALU_DEP_3)
	v_fma_f16 v23, v23, v14, -v15
	v_cvt_f64_f32_e32 v[14:15], v6
	v_cvt_f32_f16_e32 v4, v4
	s_delay_alu instid0(VALU_DEP_2) | instskip(NEXT) | instid1(VALU_DEP_1)
	v_mul_f64_e32 v[14:15], s[10:11], v[14:15]
	v_and_or_b32 v6, 0x1ff, v15, v14
	v_lshrrev_b32_e32 v14, 8, v15
	s_delay_alu instid0(VALU_DEP_2) | instskip(SKIP_1) | instid1(VALU_DEP_1)
	v_cmp_ne_u32_e64 s2, 0, v6
	s_wait_alu 0xf1ff
	v_cndmask_b32_e64 v6, 0, 1, s2
	s_delay_alu instid0(VALU_DEP_1) | instskip(SKIP_1) | instid1(VALU_DEP_2)
	v_and_or_b32 v6, 0xffe, v14, v6
	v_bfe_u32 v14, v15, 20, 11
	v_or_b32_e32 v24, 0x1000, v6
	s_delay_alu instid0(VALU_DEP_2) | instskip(SKIP_2) | instid1(VALU_DEP_3)
	v_sub_nc_u32_e32 v16, 0x3f1, v14
	v_add_nc_u32_e32 v14, 0xfffffc10, v14
	v_cmp_ne_u32_e64 s3, 0, v6
	v_med3_i32 v16, v16, 0, 13
	s_delay_alu instid0(VALU_DEP_1) | instskip(NEXT) | instid1(VALU_DEP_1)
	v_lshrrev_b32_e32 v25, v16, v24
	v_lshlrev_b32_e32 v16, v16, v25
	s_delay_alu instid0(VALU_DEP_1) | instskip(SKIP_2) | instid1(VALU_DEP_2)
	v_cmp_ne_u32_e64 s2, v16, v24
	v_lshl_or_b32 v24, v14, 12, v6
	s_wait_alu 0xf1ff
	v_cndmask_b32_e64 v16, 0, 1, s2
	v_cmp_gt_i32_e64 s2, 1, v14
	s_delay_alu instid0(VALU_DEP_2) | instskip(SKIP_1) | instid1(VALU_DEP_1)
	v_or_b32_e32 v16, v25, v16
	s_wait_alu 0xf1ff
	v_cndmask_b32_e64 v16, v24, v16, s2
	v_cndmask_b32_e64 v24, 0, 1, s0
	v_cmp_gt_i32_e64 s0, 1, v9
	s_delay_alu instid0(VALU_DEP_2) | instskip(SKIP_2) | instid1(VALU_DEP_1)
	v_or_b32_e32 v10, v10, v24
	v_lshl_or_b32 v24, v9, 12, v2
	s_wait_alu 0xf1ff
	v_cndmask_b32_e64 v10, v24, v10, s0
	v_and_b32_e32 v24, 7, v16
	s_delay_alu instid0(VALU_DEP_2) | instskip(NEXT) | instid1(VALU_DEP_2)
	v_and_b32_e32 v6, 7, v10
	v_cmp_lt_i32_e64 s0, 5, v24
	v_cmp_eq_u32_e64 s2, 3, v24
	v_lshrrev_b32_e32 v10, 2, v10
	s_delay_alu instid0(VALU_DEP_4) | instskip(SKIP_4) | instid1(VALU_DEP_3)
	v_cmp_lt_i32_e64 s4, 5, v6
	v_cmp_eq_u32_e64 s5, 3, v6
	v_lshrrev_b32_e32 v6, 2, v16
	s_or_b32 s0, s2, s0
	v_cndmask_b32_e64 v16, 0, 1, s3
	s_or_b32 s2, s5, s4
	s_wait_alu 0xfffe
	v_add_co_ci_u32_e64 v6, s0, 0, v6, s0
	v_cmp_gt_i32_e64 s0, 31, v14
	v_lshl_or_b32 v16, v16, 9, 0x7c00
	v_add_co_ci_u32_e64 v10, s2, 0, v10, s2
	v_cmp_gt_i32_e64 s2, 31, v9
	s_wait_alu 0xf1ff
	v_cndmask_b32_e64 v6, 0x7c00, v6, s0
	v_cmp_eq_u32_e64 s0, 0x40f, v14
	v_cmp_gt_i32_e64 s4, 1, v7
	v_cndmask_b32_e64 v10, 0x7c00, v10, s2
	s_wait_alu 0xf1ff
	s_delay_alu instid0(VALU_DEP_3) | instskip(SKIP_3) | instid1(VALU_DEP_2)
	v_cndmask_b32_e64 v6, v6, v16, s0
	v_cmp_ne_u32_e64 s0, 0, v2
	v_lshrrev_b32_e32 v2, 16, v15
	s_wait_alu 0xf1ff
	v_cndmask_b32_e64 v14, 0, 1, s0
	v_cmp_eq_u32_e64 s0, 0x40f, v9
	s_delay_alu instid0(VALU_DEP_3) | instskip(NEXT) | instid1(VALU_DEP_3)
	v_and_or_b32 v2, 0x8000, v2, v6
	v_lshl_or_b32 v14, v14, 9, 0x7c00
	s_delay_alu instid0(VALU_DEP_2) | instskip(SKIP_1) | instid1(VALU_DEP_2)
	v_and_b32_e32 v2, 0xffff, v2
	s_wait_alu 0xf1ff
	v_cndmask_b32_e64 v9, v10, v14, s0
	ds_load_2addr_b32 v[14:15], v147 offset0:72 offset1:180
	v_and_or_b32 v3, 0x8000, v3, v9
	v_add_co_u32 v9, s0, v17, s8
	s_wait_alu 0xf1ff
	v_add_co_ci_u32_e64 v10, s0, s9, v18, s0
	s_delay_alu instid0(VALU_DEP_3)
	v_lshl_or_b32 v2, v3, 16, v2
	global_store_b32 v[17:18], v2, off
	scratch_load_b32 v17, off, off offset:156 th:TH_LOAD_LU ; 4-byte Folded Reload
	s_wait_dscnt 0x0
	v_lshrrev_b32_e32 v18, 16, v14
	v_mul_f16_e32 v2, v28, v14
	s_delay_alu instid0(VALU_DEP_1) | instskip(NEXT) | instid1(VALU_DEP_1)
	v_fma_f16 v2, v29, v18, -v2
	v_cvt_f32_f16_e32 v2, v2
	s_delay_alu instid0(VALU_DEP_1) | instskip(NEXT) | instid1(VALU_DEP_1)
	v_cvt_f64_f32_e32 v[2:3], v2
	v_mul_f64_e32 v[2:3], s[10:11], v[2:3]
	s_delay_alu instid0(VALU_DEP_1) | instskip(SKIP_3) | instid1(VALU_DEP_4)
	v_and_or_b32 v2, 0x1ff, v3, v2
	v_lshrrev_b32_e32 v6, 8, v3
	v_bfe_u32 v24, v3, 20, 11
	v_lshrrev_b32_e32 v3, 16, v3
	v_cmp_ne_u32_e64 s0, 0, v2
	s_wait_alu 0xf1ff
	s_delay_alu instid0(VALU_DEP_1) | instskip(NEXT) | instid1(VALU_DEP_1)
	v_cndmask_b32_e64 v2, 0, 1, s0
	v_and_or_b32 v2, 0xffe, v6, v2
	v_sub_nc_u32_e32 v6, 0x3f1, v24
	s_delay_alu instid0(VALU_DEP_2) | instskip(NEXT) | instid1(VALU_DEP_2)
	v_or_b32_e32 v16, 0x1000, v2
	v_med3_i32 v6, v6, 0, 13
	s_delay_alu instid0(VALU_DEP_1) | instskip(NEXT) | instid1(VALU_DEP_1)
	v_lshrrev_b32_e32 v25, v6, v16
	v_lshlrev_b32_e32 v6, v6, v25
	s_delay_alu instid0(VALU_DEP_1) | instskip(SKIP_2) | instid1(VALU_DEP_1)
	v_cmp_ne_u32_e64 s0, v6, v16
	v_lshrrev_b32_e32 v16, 16, v20
	s_wait_loadcnt 0x0
	v_mul_f16_e32 v6, v17, v16
	v_mul_f16_e32 v17, v17, v20
	s_delay_alu instid0(VALU_DEP_2) | instskip(NEXT) | instid1(VALU_DEP_2)
	v_fmac_f16_e32 v6, v19, v20
	v_fma_f16 v19, v19, v16, -v17
	v_cvt_f32_f16_e32 v16, v21
	s_delay_alu instid0(VALU_DEP_1) | instskip(NEXT) | instid1(VALU_DEP_1)
	v_cvt_f64_f32_e32 v[16:17], v16
	v_mul_f64_e32 v[16:17], s[10:11], v[16:17]
	s_delay_alu instid0(VALU_DEP_1) | instskip(SKIP_1) | instid1(VALU_DEP_2)
	v_and_or_b32 v16, 0x1ff, v17, v16
	v_lshrrev_b32_e32 v20, 8, v17
	v_cmp_ne_u32_e64 s2, 0, v16
	s_wait_alu 0xf1ff
	s_delay_alu instid0(VALU_DEP_1) | instskip(NEXT) | instid1(VALU_DEP_1)
	v_cndmask_b32_e64 v16, 0, 1, s2
	v_and_or_b32 v16, 0xffe, v20, v16
	v_bfe_u32 v20, v17, 20, 11
	v_lshrrev_b32_e32 v17, 16, v17
	s_delay_alu instid0(VALU_DEP_3) | instskip(NEXT) | instid1(VALU_DEP_3)
	v_or_b32_e32 v26, 0x1000, v16
	v_sub_nc_u32_e32 v21, 0x3f1, v20
	v_add_nc_u32_e32 v20, 0xfffffc10, v20
	s_delay_alu instid0(VALU_DEP_2) | instskip(NEXT) | instid1(VALU_DEP_1)
	v_med3_i32 v21, v21, 0, 13
	v_lshrrev_b32_e32 v27, v21, v26
	s_delay_alu instid0(VALU_DEP_1) | instskip(NEXT) | instid1(VALU_DEP_1)
	v_lshlrev_b32_e32 v21, v21, v27
	v_cmp_ne_u32_e64 s2, v21, v26
	v_lshl_or_b32 v26, v20, 12, v16
	s_wait_alu 0xf1ff
	s_delay_alu instid0(VALU_DEP_2) | instskip(SKIP_1) | instid1(VALU_DEP_2)
	v_cndmask_b32_e64 v21, 0, 1, s2
	v_cmp_gt_i32_e64 s2, 1, v20
	v_or_b32_e32 v21, v27, v21
	scratch_load_b32 v27, off, off offset:132 th:TH_LOAD_LU ; 4-byte Folded Reload
	s_wait_alu 0xf1ff
	v_cndmask_b32_e64 v21, v26, v21, s2
	s_delay_alu instid0(VALU_DEP_1) | instskip(NEXT) | instid1(VALU_DEP_1)
	v_and_b32_e32 v26, 7, v21
	v_cmp_lt_i32_e64 s2, 5, v26
	v_cmp_eq_u32_e64 s3, 3, v26
	s_wait_alu 0xfffd
	v_cndmask_b32_e64 v26, 0, 1, vcc_lo
	v_cmp_ne_u32_e32 vcc_lo, 0, v16
	v_lshl_or_b32 v16, v7, 12, v0
	s_or_b32 s2, s3, s2
	s_delay_alu instid0(VALU_DEP_3)
	v_or_b32_e32 v8, v8, v26
	scratch_load_b32 v26, off, off offset:128 th:TH_LOAD_LU ; 4-byte Folded Reload
	v_cmp_ne_u32_e64 s3, 0, v0
	v_cndmask_b32_e64 v8, v16, v8, s4
	v_lshrrev_b32_e32 v16, 2, v21
	s_wait_alu 0xfffd
	v_cndmask_b32_e64 v21, 0, 1, vcc_lo
	v_cmp_eq_u32_e32 vcc_lo, 0x40f, v20
	v_lshrrev_b32_e32 v0, 2, v8
	s_wait_alu 0xfffe
	v_add_co_ci_u32_e64 v16, s2, 0, v16, s2
	v_cmp_gt_i32_e64 s2, 31, v20
	v_lshl_or_b32 v21, v21, 9, 0x7c00
	v_and_b32_e32 v20, 7, v8
	s_wait_alu 0xf1ff
	v_cndmask_b32_e64 v8, 0, 1, s3
	v_cndmask_b32_e64 v16, 0x7c00, v16, s2
	s_delay_alu instid0(VALU_DEP_3) | instskip(NEXT) | instid1(VALU_DEP_3)
	v_cmp_eq_u32_e64 s2, 3, v20
	v_lshl_or_b32 v8, v8, 9, 0x7c00
	s_wait_alu 0xfffd
	s_delay_alu instid0(VALU_DEP_3)
	v_cndmask_b32_e32 v16, v16, v21, vcc_lo
	v_cmp_lt_i32_e32 vcc_lo, 5, v20
	s_or_b32 vcc_lo, s2, vcc_lo
	s_wait_alu 0xfffe
	v_add_co_ci_u32_e32 v0, vcc_lo, 0, v0, vcc_lo
	v_cmp_gt_i32_e32 vcc_lo, 31, v7
	s_wait_alu 0xfffd
	s_delay_alu instid0(VALU_DEP_2) | instskip(SKIP_3) | instid1(VALU_DEP_3)
	v_cndmask_b32_e32 v0, 0x7c00, v0, vcc_lo
	v_cmp_eq_u32_e32 vcc_lo, 0x40f, v7
	v_and_or_b32 v7, 0x8000, v17, v16
	s_wait_alu 0xfffd
	v_cndmask_b32_e32 v0, v0, v8, vcc_lo
	s_delay_alu instid0(VALU_DEP_1) | instskip(NEXT) | instid1(VALU_DEP_3)
	v_and_or_b32 v0, 0x8000, v1, v0
	v_and_b32_e32 v1, 0xffff, v7
	v_add_co_u32 v7, vcc_lo, v9, s14
	s_wait_alu 0xfffd
	v_add_co_ci_u32_e32 v8, vcc_lo, s15, v10, vcc_lo
	s_delay_alu instid0(VALU_DEP_3) | instskip(SKIP_2) | instid1(VALU_DEP_1)
	v_lshl_or_b32 v0, v0, 16, v1
	global_store_b32 v[9:10], v0, off
	v_cvt_f32_f16_e32 v0, v23
	v_cvt_f64_f32_e32 v[0:1], v0
	s_delay_alu instid0(VALU_DEP_1) | instskip(NEXT) | instid1(VALU_DEP_1)
	v_mul_f64_e32 v[0:1], s[10:11], v[0:1]
	v_and_or_b32 v0, 0x1ff, v1, v0
	v_lshrrev_b32_e32 v9, 8, v1
	v_bfe_u32 v16, v1, 20, 11
	v_lshrrev_b32_e32 v1, 16, v1
	s_delay_alu instid0(VALU_DEP_4) | instskip(SKIP_2) | instid1(VALU_DEP_1)
	v_cmp_ne_u32_e32 vcc_lo, 0, v0
	s_wait_alu 0xfffd
	v_cndmask_b32_e64 v0, 0, 1, vcc_lo
	v_and_or_b32 v0, 0xffe, v9, v0
	v_sub_nc_u32_e32 v9, 0x3f1, v16
	s_delay_alu instid0(VALU_DEP_2) | instskip(NEXT) | instid1(VALU_DEP_2)
	v_or_b32_e32 v10, 0x1000, v0
	v_med3_i32 v9, v9, 0, 13
	s_delay_alu instid0(VALU_DEP_1) | instskip(NEXT) | instid1(VALU_DEP_1)
	v_lshrrev_b32_e32 v17, v9, v10
	v_lshlrev_b32_e32 v9, v9, v17
	s_delay_alu instid0(VALU_DEP_1) | instskip(SKIP_1) | instid1(VALU_DEP_1)
	v_cmp_ne_u32_e32 vcc_lo, v9, v10
	v_cvt_f32_f16_e32 v9, v22
	v_cvt_f64_f32_e32 v[9:10], v9
	s_delay_alu instid0(VALU_DEP_1) | instskip(NEXT) | instid1(VALU_DEP_1)
	v_mul_f64_e32 v[9:10], s[10:11], v[9:10]
	v_and_or_b32 v9, 0x1ff, v10, v9
	v_lshrrev_b32_e32 v20, 8, v10
	s_delay_alu instid0(VALU_DEP_2) | instskip(SKIP_1) | instid1(VALU_DEP_1)
	v_cmp_ne_u32_e64 s2, 0, v9
	s_wait_alu 0xf1ff
	v_cndmask_b32_e64 v9, 0, 1, s2
	s_delay_alu instid0(VALU_DEP_1) | instskip(SKIP_2) | instid1(VALU_DEP_3)
	v_and_or_b32 v9, 0xffe, v20, v9
	v_bfe_u32 v20, v10, 20, 11
	v_lshrrev_b32_e32 v10, 16, v10
	v_or_b32_e32 v22, 0x1000, v9
	s_delay_alu instid0(VALU_DEP_3) | instskip(SKIP_2) | instid1(VALU_DEP_3)
	v_sub_nc_u32_e32 v21, 0x3f1, v20
	v_add_nc_u32_e32 v20, 0xfffffc10, v20
	v_cmp_ne_u32_e64 s3, 0, v9
	v_med3_i32 v21, v21, 0, 13
	s_delay_alu instid0(VALU_DEP_1) | instskip(NEXT) | instid1(VALU_DEP_1)
	v_lshrrev_b32_e32 v23, v21, v22
	v_lshlrev_b32_e32 v21, v21, v23
	s_delay_alu instid0(VALU_DEP_1) | instskip(SKIP_2) | instid1(VALU_DEP_2)
	v_cmp_ne_u32_e64 s2, v21, v22
	v_lshl_or_b32 v22, v20, 12, v9
	s_wait_alu 0xf1ff
	v_cndmask_b32_e64 v21, 0, 1, s2
	v_cmp_gt_i32_e64 s2, 1, v20
	s_delay_alu instid0(VALU_DEP_2) | instskip(SKIP_1) | instid1(VALU_DEP_1)
	v_or_b32_e32 v21, v23, v21
	s_wait_alu 0xf1ff
	v_cndmask_b32_e64 v21, v22, v21, s2
	v_cndmask_b32_e64 v22, 0, 1, s1
	v_cmp_gt_i32_e64 s1, 1, v12
	s_delay_alu instid0(VALU_DEP_2) | instskip(SKIP_2) | instid1(VALU_DEP_1)
	v_or_b32_e32 v13, v13, v22
	v_lshl_or_b32 v22, v12, 12, v11
	s_wait_alu 0xf1ff
	v_cndmask_b32_e64 v13, v22, v13, s1
	v_and_b32_e32 v22, 7, v21
	s_delay_alu instid0(VALU_DEP_2) | instskip(NEXT) | instid1(VALU_DEP_2)
	v_and_b32_e32 v9, 7, v13
	v_cmp_lt_i32_e64 s1, 5, v22
	v_cmp_eq_u32_e64 s2, 3, v22
	s_delay_alu instid0(VALU_DEP_3) | instskip(SKIP_2) | instid1(VALU_DEP_4)
	v_cmp_lt_i32_e64 s4, 5, v9
	v_cmp_eq_u32_e64 s5, 3, v9
	v_lshrrev_b32_e32 v9, 2, v21
	s_or_b32 s1, s2, s1
	v_cndmask_b32_e64 v21, 0, 1, s3
	s_delay_alu instid0(VALU_DEP_3)
	s_or_b32 s2, s5, s4
	s_wait_alu 0xfffe
	v_add_co_ci_u32_e64 v9, s1, 0, v9, s1
	v_cmp_gt_i32_e64 s1, 31, v20
	v_lshl_or_b32 v21, v21, 9, 0x7c00
	s_wait_alu 0xf1ff
	s_delay_alu instid0(VALU_DEP_2) | instskip(SKIP_2) | instid1(VALU_DEP_1)
	v_cndmask_b32_e64 v9, 0x7c00, v9, s1
	v_cmp_eq_u32_e64 s1, 0x40f, v20
	s_wait_alu 0xf1ff
	v_cndmask_b32_e64 v9, v9, v21, s1
	v_cmp_ne_u32_e64 s1, 0, v11
	v_lshrrev_b32_e32 v11, 2, v13
	s_delay_alu instid0(VALU_DEP_3) | instskip(SKIP_1) | instid1(VALU_DEP_3)
	v_and_or_b32 v9, 0x8000, v10, v9
	s_wait_alu 0xf1ff
	v_cndmask_b32_e64 v13, 0, 1, s1
	s_delay_alu instid0(VALU_DEP_3) | instskip(SKIP_2) | instid1(VALU_DEP_4)
	v_add_co_ci_u32_e64 v11, s2, 0, v11, s2
	v_cmp_gt_i32_e64 s2, 31, v12
	v_cmp_eq_u32_e64 s1, 0x40f, v12
	v_lshl_or_b32 v13, v13, 9, 0x7c00
	scratch_load_b32 v12, off, off offset:144 th:TH_LOAD_LU ; 4-byte Folded Reload
	v_and_b32_e32 v9, 0xffff, v9
	s_wait_alu 0xf1ff
	v_cndmask_b32_e64 v11, 0x7c00, v11, s2
	v_lshrrev_b32_e32 v10, 16, v15
	s_delay_alu instid0(VALU_DEP_2) | instskip(NEXT) | instid1(VALU_DEP_1)
	v_cndmask_b32_e64 v11, v11, v13, s1
	v_and_or_b32 v5, 0x8000, v5, v11
	scratch_load_b32 v11, off, off offset:148 th:TH_LOAD_LU ; 4-byte Folded Reload
	v_lshl_or_b32 v5, v5, 16, v9
	v_mul_f16_e32 v9, v28, v18
	scratch_load_b32 v28, off, off offset:136 th:TH_LOAD_LU ; 4-byte Folded Reload
	global_store_b32 v[7:8], v5, off
	v_fmac_f16_e32 v9, v29, v14
	scratch_load_b32 v29, off, off offset:140 th:TH_LOAD_LU ; 4-byte Folded Reload
	v_add_co_u32 v7, s1, v7, s14
	s_wait_alu 0xf1ff
	v_add_co_ci_u32_e64 v8, s1, s15, v8, s1
	v_cvt_f32_f16_e32 v9, v9
	s_wait_loadcnt 0x2
	v_mul_f16_e32 v5, v11, v10
	v_mul_f16_e32 v11, v11, v15
	s_delay_alu instid0(VALU_DEP_2) | instskip(NEXT) | instid1(VALU_DEP_2)
	v_fmac_f16_e32 v5, v12, v15
	v_fma_f16 v11, v12, v10, -v11
	v_cvt_f64_f32_e32 v[9:10], v9
	s_delay_alu instid0(VALU_DEP_1) | instskip(NEXT) | instid1(VALU_DEP_1)
	v_mul_f64_e32 v[9:10], s[10:11], v[9:10]
	v_and_or_b32 v9, 0x1ff, v10, v9
	v_lshrrev_b32_e32 v12, 8, v10
	s_delay_alu instid0(VALU_DEP_2) | instskip(SKIP_1) | instid1(VALU_DEP_1)
	v_cmp_ne_u32_e64 s1, 0, v9
	s_wait_alu 0xf1ff
	v_cndmask_b32_e64 v9, 0, 1, s1
	s_delay_alu instid0(VALU_DEP_1) | instskip(SKIP_1) | instid1(VALU_DEP_2)
	v_and_or_b32 v9, 0xffe, v12, v9
	v_bfe_u32 v12, v10, 20, 11
	v_or_b32_e32 v14, 0x1000, v9
	s_delay_alu instid0(VALU_DEP_2) | instskip(SKIP_2) | instid1(VALU_DEP_3)
	v_sub_nc_u32_e32 v13, 0x3f1, v12
	v_add_nc_u32_e32 v12, 0xfffffc10, v12
	v_cmp_ne_u32_e64 s2, 0, v9
	v_med3_i32 v13, v13, 0, 13
	s_delay_alu instid0(VALU_DEP_1) | instskip(NEXT) | instid1(VALU_DEP_1)
	v_lshrrev_b32_e32 v15, v13, v14
	v_lshlrev_b32_e32 v13, v13, v15
	s_delay_alu instid0(VALU_DEP_1) | instskip(SKIP_2) | instid1(VALU_DEP_2)
	v_cmp_ne_u32_e64 s1, v13, v14
	v_lshl_or_b32 v14, v12, 12, v9
	s_wait_alu 0xf1ff
	v_cndmask_b32_e64 v13, 0, 1, s1
	v_cmp_gt_i32_e64 s1, 1, v12
	s_delay_alu instid0(VALU_DEP_2) | instskip(SKIP_2) | instid1(VALU_DEP_2)
	v_or_b32_e32 v13, v15, v13
	v_add_nc_u32_e32 v15, 0xfffffc10, v24
	s_wait_alu 0xf1ff
	v_cndmask_b32_e64 v13, v14, v13, s1
	v_cndmask_b32_e64 v14, 0, 1, s0
	s_delay_alu instid0(VALU_DEP_3) | instskip(SKIP_1) | instid1(VALU_DEP_3)
	v_lshl_or_b32 v18, v15, 12, v2
	v_cmp_gt_i32_e64 s0, 1, v15
	v_or_b32_e32 v14, v25, v14
	s_wait_alu 0xf1ff
	s_delay_alu instid0(VALU_DEP_1) | instskip(SKIP_1) | instid1(VALU_DEP_2)
	v_cndmask_b32_e64 v14, v18, v14, s0
	v_and_b32_e32 v18, 7, v13
	v_and_b32_e32 v9, 7, v14
	s_delay_alu instid0(VALU_DEP_2) | instskip(SKIP_1) | instid1(VALU_DEP_3)
	v_cmp_lt_i32_e64 s0, 5, v18
	v_cmp_eq_u32_e64 s1, 3, v18
	v_cmp_lt_i32_e64 s3, 5, v9
	v_cmp_eq_u32_e64 s4, 3, v9
	v_lshrrev_b32_e32 v9, 2, v13
	s_delay_alu instid0(VALU_DEP_4) | instskip(SKIP_1) | instid1(VALU_DEP_3)
	s_or_b32 s0, s1, s0
	v_cndmask_b32_e64 v13, 0, 1, s2
	s_or_b32 s1, s4, s3
	s_wait_alu 0xfffe
	v_add_co_ci_u32_e64 v9, s0, 0, v9, s0
	v_cmp_gt_i32_e64 s0, 31, v12
	v_lshl_or_b32 v13, v13, 9, 0x7c00
	s_wait_alu 0xf1ff
	s_delay_alu instid0(VALU_DEP_2) | instskip(SKIP_2) | instid1(VALU_DEP_1)
	v_cndmask_b32_e64 v9, 0x7c00, v9, s0
	v_cmp_eq_u32_e64 s0, 0x40f, v12
	s_wait_alu 0xf1ff
	v_cndmask_b32_e64 v9, v9, v13, s0
	v_cmp_ne_u32_e64 s0, 0, v2
	v_lshrrev_b32_e32 v2, 16, v10
	v_lshrrev_b32_e32 v10, 2, v14
	s_wait_alu 0xf1ff
	s_delay_alu instid0(VALU_DEP_3) | instskip(SKIP_1) | instid1(VALU_DEP_3)
	v_cndmask_b32_e64 v12, 0, 1, s0
	v_cmp_eq_u32_e64 s0, 0x40f, v15
	v_add_co_ci_u32_e64 v10, s1, 0, v10, s1
	v_cmp_gt_i32_e64 s1, 31, v15
	s_delay_alu instid0(VALU_DEP_4) | instskip(SKIP_2) | instid1(VALU_DEP_3)
	v_lshl_or_b32 v12, v12, 9, 0x7c00
	v_and_or_b32 v2, 0x8000, v2, v9
	s_wait_alu 0xf1ff
	v_cndmask_b32_e64 v10, 0x7c00, v10, s1
	s_delay_alu instid0(VALU_DEP_2) | instskip(NEXT) | instid1(VALU_DEP_2)
	v_and_b32_e32 v2, 0xffff, v2
	v_cndmask_b32_e64 v10, v10, v12, s0
	s_delay_alu instid0(VALU_DEP_1) | instskip(NEXT) | instid1(VALU_DEP_1)
	v_and_or_b32 v3, 0x8000, v3, v10
	v_lshl_or_b32 v2, v3, 16, v2
	global_store_b32 v[7:8], v2, off
	v_add_co_u32 v2, s0, v7, s8
	v_cvt_f32_f16_e32 v7, v19
	s_wait_alu 0xf1ff
	v_add_co_ci_u32_e64 v3, s0, s9, v8, s0
	s_delay_alu instid0(VALU_DEP_2) | instskip(NEXT) | instid1(VALU_DEP_1)
	v_cvt_f64_f32_e32 v[7:8], v7
	v_mul_f64_e32 v[7:8], s[10:11], v[7:8]
	s_delay_alu instid0(VALU_DEP_1) | instskip(SKIP_2) | instid1(VALU_DEP_3)
	v_and_or_b32 v7, 0x1ff, v8, v7
	v_lshrrev_b32_e32 v9, 8, v8
	v_bfe_u32 v18, v8, 20, 11
	v_cmp_ne_u32_e64 s0, 0, v7
	s_wait_alu 0xf1ff
	s_delay_alu instid0(VALU_DEP_1) | instskip(NEXT) | instid1(VALU_DEP_1)
	v_cndmask_b32_e64 v7, 0, 1, s0
	v_and_or_b32 v7, 0xffe, v9, v7
	v_sub_nc_u32_e32 v9, 0x3f1, v18
	s_delay_alu instid0(VALU_DEP_2) | instskip(NEXT) | instid1(VALU_DEP_2)
	v_or_b32_e32 v10, 0x1000, v7
	v_med3_i32 v9, v9, 0, 13
	s_delay_alu instid0(VALU_DEP_1) | instskip(NEXT) | instid1(VALU_DEP_1)
	v_lshrrev_b32_e32 v19, v9, v10
	v_lshlrev_b32_e32 v9, v9, v19
	s_delay_alu instid0(VALU_DEP_1) | instskip(SKIP_1) | instid1(VALU_DEP_1)
	v_cmp_ne_u32_e64 s1, v9, v10
	v_cvt_f64_f32_e32 v[9:10], v4
	v_mul_f64_e32 v[9:10], s[10:11], v[9:10]
	s_delay_alu instid0(VALU_DEP_1) | instskip(SKIP_1) | instid1(VALU_DEP_2)
	v_and_or_b32 v4, 0x1ff, v10, v9
	v_lshrrev_b32_e32 v9, 8, v10
	v_cmp_ne_u32_e64 s0, 0, v4
	s_wait_alu 0xf1ff
	s_delay_alu instid0(VALU_DEP_1) | instskip(NEXT) | instid1(VALU_DEP_1)
	v_cndmask_b32_e64 v4, 0, 1, s0
	v_and_or_b32 v4, 0xffe, v9, v4
	v_bfe_u32 v9, v10, 20, 11
	s_delay_alu instid0(VALU_DEP_2) | instskip(NEXT) | instid1(VALU_DEP_2)
	v_or_b32_e32 v13, 0x1000, v4
	v_sub_nc_u32_e32 v12, 0x3f1, v9
	v_add_nc_u32_e32 v9, 0xfffffc10, v9
	s_delay_alu instid0(VALU_DEP_2) | instskip(NEXT) | instid1(VALU_DEP_1)
	v_med3_i32 v12, v12, 0, 13
	v_lshrrev_b32_e32 v14, v12, v13
	s_delay_alu instid0(VALU_DEP_1) | instskip(NEXT) | instid1(VALU_DEP_1)
	v_lshlrev_b32_e32 v12, v12, v14
	v_cmp_ne_u32_e64 s0, v12, v13
	v_lshl_or_b32 v13, v9, 12, v4
	s_wait_alu 0xf1ff
	s_delay_alu instid0(VALU_DEP_2) | instskip(SKIP_1) | instid1(VALU_DEP_2)
	v_cndmask_b32_e64 v12, 0, 1, s0
	v_cmp_gt_i32_e64 s0, 1, v9
	v_or_b32_e32 v12, v14, v12
	s_wait_alu 0xf1ff
	s_delay_alu instid0(VALU_DEP_1) | instskip(NEXT) | instid1(VALU_DEP_1)
	v_cndmask_b32_e64 v12, v13, v12, s0
	v_and_b32_e32 v13, 7, v12
	v_lshrrev_b32_e32 v12, 2, v12
	s_delay_alu instid0(VALU_DEP_2)
	v_cmp_lt_i32_e64 s0, 5, v13
	v_cmp_eq_u32_e64 s2, 3, v13
	s_wait_alu 0xfffd
	v_cndmask_b32_e64 v13, 0, 1, vcc_lo
	v_cmp_ne_u32_e32 vcc_lo, 0, v4
	v_add_nc_u32_e32 v4, 0xfffffc10, v16
	s_or_b32 s0, s2, s0
	s_delay_alu instid0(VALU_DEP_3)
	v_or_b32_e32 v13, v17, v13
	s_wait_alu 0xfffe
	v_add_co_ci_u32_e64 v12, s0, 0, v12, s0
	v_lshl_or_b32 v14, v4, 12, v0
	v_cmp_gt_i32_e64 s3, 1, v4
	v_cmp_gt_i32_e64 s0, 31, v9
	v_cmp_ne_u32_e64 s2, 0, v0
	v_lshrrev_b32_e32 v0, 16, v10
	s_wait_alu 0xf1ff
	v_cndmask_b32_e64 v13, v14, v13, s3
	s_wait_alu 0xfffd
	v_cndmask_b32_e64 v14, 0, 1, vcc_lo
	v_cndmask_b32_e64 v12, 0x7c00, v12, s0
	v_cmp_eq_u32_e32 vcc_lo, 0x40f, v9
	v_lshrrev_b32_e32 v10, 2, v13
	s_delay_alu instid0(VALU_DEP_4) | instskip(SKIP_1) | instid1(VALU_DEP_1)
	v_lshl_or_b32 v14, v14, 9, 0x7c00
	s_wait_alu 0xfffd
	v_dual_cndmask_b32 v9, v12, v14 :: v_dual_and_b32 v12, 7, v13
	s_delay_alu instid0(VALU_DEP_1) | instskip(NEXT) | instid1(VALU_DEP_2)
	v_and_or_b32 v0, 0x8000, v0, v9
	v_cmp_lt_i32_e32 vcc_lo, 5, v12
	v_cmp_eq_u32_e64 s0, 3, v12
	v_cndmask_b32_e64 v12, 0, 1, s2
	s_delay_alu instid0(VALU_DEP_4) | instskip(NEXT) | instid1(VALU_DEP_3)
	v_and_b32_e32 v0, 0xffff, v0
	s_or_b32 vcc_lo, s0, vcc_lo
	s_delay_alu instid0(VALU_DEP_2) | instskip(SKIP_4) | instid1(VALU_DEP_2)
	v_lshl_or_b32 v12, v12, 9, 0x7c00
	s_wait_alu 0xfffe
	v_add_co_ci_u32_e32 v10, vcc_lo, 0, v10, vcc_lo
	v_cmp_gt_i32_e32 vcc_lo, 31, v4
	s_wait_alu 0xfffd
	v_cndmask_b32_e32 v10, 0x7c00, v10, vcc_lo
	v_cmp_eq_u32_e32 vcc_lo, 0x40f, v4
	s_wait_alu 0xfffd
	s_delay_alu instid0(VALU_DEP_2) | instskip(SKIP_3) | instid1(VALU_DEP_3)
	v_cndmask_b32_e32 v4, v10, v12, vcc_lo
	v_add_co_u32 v12, vcc_lo, v2, s14
	s_wait_alu 0xfffd
	v_add_co_ci_u32_e32 v13, vcc_lo, s15, v3, vcc_lo
	v_and_or_b32 v1, 0x8000, v1, v4
	s_delay_alu instid0(VALU_DEP_1)
	v_lshl_or_b32 v0, v1, 16, v0
	global_store_b32 v[2:3], v0, off
	v_cvt_f32_f16_e32 v0, v11
	ds_load_2addr_b32 v[3:4], v197 offset0:48 offset1:156
	v_cvt_f64_f32_e32 v[0:1], v0
	s_wait_dscnt 0x0
	v_lshrrev_b32_e32 v22, 16, v3
	s_delay_alu instid0(VALU_DEP_2) | instskip(NEXT) | instid1(VALU_DEP_1)
	v_mul_f64_e32 v[14:15], s[10:11], v[0:1]
	v_and_or_b32 v0, 0x1ff, v15, v14
	v_lshrrev_b32_e32 v1, 8, v15
	v_bfe_u32 v20, v15, 20, 11
	s_delay_alu instid0(VALU_DEP_3) | instskip(SKIP_2) | instid1(VALU_DEP_1)
	v_cmp_ne_u32_e32 vcc_lo, 0, v0
	s_wait_alu 0xfffd
	v_cndmask_b32_e64 v0, 0, 1, vcc_lo
	v_and_or_b32 v14, 0xffe, v1, v0
	v_sub_nc_u32_e32 v0, 0x3f1, v20
	v_add_nc_u32_e32 v20, 0xfffffc10, v20
	s_delay_alu instid0(VALU_DEP_3) | instskip(NEXT) | instid1(VALU_DEP_3)
	v_or_b32_e32 v1, 0x1000, v14
	v_med3_i32 v0, v0, 0, 13
	s_delay_alu instid0(VALU_DEP_1) | instskip(NEXT) | instid1(VALU_DEP_1)
	v_lshrrev_b32_e32 v21, v0, v1
	v_lshlrev_b32_e32 v0, v0, v21
	s_delay_alu instid0(VALU_DEP_1) | instskip(SKIP_2) | instid1(VALU_DEP_1)
	v_cmp_ne_u32_e64 s2, v0, v1
	s_wait_loadcnt 0x0
	v_mul_f16_e32 v0, v29, v3
	v_fma_f16 v0, v28, v22, -v0
	s_delay_alu instid0(VALU_DEP_1) | instskip(NEXT) | instid1(VALU_DEP_1)
	v_cvt_f32_f16_e32 v0, v0
	v_cvt_f64_f32_e32 v[0:1], v0
	s_delay_alu instid0(VALU_DEP_1) | instskip(NEXT) | instid1(VALU_DEP_1)
	v_mul_f64_e32 v[1:2], s[10:11], v[0:1]
	v_and_or_b32 v0, 0x1ff, v2, v1
	v_lshrrev_b32_e32 v1, 8, v2
	v_bfe_u32 v10, v2, 20, 11
	v_lshrrev_b32_e32 v2, 16, v2
	s_delay_alu instid0(VALU_DEP_4) | instskip(SKIP_2) | instid1(VALU_DEP_1)
	v_cmp_ne_u32_e32 vcc_lo, 0, v0
	s_wait_alu 0xfffd
	v_cndmask_b32_e64 v0, 0, 1, vcc_lo
	v_and_or_b32 v9, 0xffe, v1, v0
	v_sub_nc_u32_e32 v0, 0x3f1, v10
	s_delay_alu instid0(VALU_DEP_2) | instskip(NEXT) | instid1(VALU_DEP_2)
	v_or_b32_e32 v1, 0x1000, v9
	v_med3_i32 v0, v0, 0, 13
	s_delay_alu instid0(VALU_DEP_1) | instskip(NEXT) | instid1(VALU_DEP_1)
	v_lshrrev_b32_e32 v11, v0, v1
	v_lshlrev_b32_e32 v0, v0, v11
	s_delay_alu instid0(VALU_DEP_1) | instskip(SKIP_1) | instid1(VALU_DEP_1)
	v_cmp_ne_u32_e64 s0, v0, v1
	v_cvt_f32_f16_e32 v0, v6
	v_cvt_f64_f32_e32 v[0:1], v0
	s_delay_alu instid0(VALU_DEP_1) | instskip(NEXT) | instid1(VALU_DEP_1)
	v_mul_f64_e32 v[0:1], s[10:11], v[0:1]
	v_and_or_b32 v0, 0x1ff, v1, v0
	v_lshrrev_b32_e32 v6, 8, v1
	s_delay_alu instid0(VALU_DEP_2) | instskip(SKIP_2) | instid1(VALU_DEP_1)
	v_cmp_ne_u32_e32 vcc_lo, 0, v0
	s_wait_alu 0xfffd
	v_cndmask_b32_e64 v0, 0, 1, vcc_lo
	v_and_or_b32 v0, 0xffe, v6, v0
	v_bfe_u32 v6, v1, 20, 11
	v_lshrrev_b32_e32 v1, 16, v1
	s_delay_alu instid0(VALU_DEP_3) | instskip(NEXT) | instid1(VALU_DEP_3)
	v_or_b32_e32 v17, 0x1000, v0
	v_sub_nc_u32_e32 v16, 0x3f1, v6
	v_add_nc_u32_e32 v6, 0xfffffc10, v6
	v_cmp_ne_u32_e64 s4, 0, v0
	s_delay_alu instid0(VALU_DEP_3) | instskip(NEXT) | instid1(VALU_DEP_1)
	v_med3_i32 v16, v16, 0, 13
	v_lshrrev_b32_e32 v23, v16, v17
	s_delay_alu instid0(VALU_DEP_1) | instskip(NEXT) | instid1(VALU_DEP_1)
	v_lshlrev_b32_e32 v16, v16, v23
	v_cmp_ne_u32_e32 vcc_lo, v16, v17
	v_lshl_or_b32 v17, v6, 12, v0
	v_cndmask_b32_e64 v0, 0, 1, s1
	s_wait_alu 0xfffd
	v_cndmask_b32_e64 v16, 0, 1, vcc_lo
	v_cmp_gt_i32_e32 vcc_lo, 1, v6
	s_delay_alu instid0(VALU_DEP_3) | instskip(NEXT) | instid1(VALU_DEP_3)
	v_or_b32_e32 v0, v19, v0
	v_or_b32_e32 v16, v23, v16
	s_wait_alu 0xfffd
	s_delay_alu instid0(VALU_DEP_1) | instskip(NEXT) | instid1(VALU_DEP_1)
	v_cndmask_b32_e32 v16, v17, v16, vcc_lo
	v_and_b32_e32 v17, 7, v16
	v_lshrrev_b32_e32 v16, 2, v16
	s_delay_alu instid0(VALU_DEP_2) | instskip(SKIP_2) | instid1(VALU_DEP_2)
	v_cmp_lt_i32_e32 vcc_lo, 5, v17
	v_cmp_eq_u32_e64 s3, 3, v17
	v_add_nc_u32_e32 v17, 0xfffffc10, v18
	s_or_b32 vcc_lo, s3, vcc_lo
	s_delay_alu instid0(VALU_DEP_1)
	v_lshl_or_b32 v18, v17, 12, v7
	v_cmp_gt_i32_e64 s1, 1, v17
	s_wait_alu 0xfffe
	v_add_co_ci_u32_e32 v16, vcc_lo, 0, v16, vcc_lo
	v_cmp_gt_i32_e32 vcc_lo, 31, v6
	v_cmp_ne_u32_e64 s3, 0, v7
	s_wait_alu 0xf1ff
	v_cndmask_b32_e64 v0, v18, v0, s1
	v_cndmask_b32_e64 v18, 0, 1, s4
	s_wait_alu 0xfffd
	v_cndmask_b32_e32 v16, 0x7c00, v16, vcc_lo
	v_cmp_eq_u32_e32 vcc_lo, 0x40f, v6
	v_cndmask_b32_e64 v7, 0, 1, s3
	v_lshl_or_b32 v18, v18, 9, 0x7c00
	s_delay_alu instid0(VALU_DEP_2) | instskip(SKIP_1) | instid1(VALU_DEP_2)
	v_lshl_or_b32 v7, v7, 9, 0x7c00
	s_wait_alu 0xfffd
	v_cndmask_b32_e32 v6, v16, v18, vcc_lo
	v_and_b32_e32 v16, 7, v0
	v_lshrrev_b32_e32 v0, 2, v0
	s_delay_alu instid0(VALU_DEP_3) | instskip(NEXT) | instid1(VALU_DEP_3)
	v_and_or_b32 v1, 0x8000, v1, v6
	v_cmp_lt_i32_e32 vcc_lo, 5, v16
	v_cmp_eq_u32_e64 s1, 3, v16
	s_delay_alu instid0(VALU_DEP_3) | instskip(NEXT) | instid1(VALU_DEP_2)
	v_and_b32_e32 v1, 0xffff, v1
	s_or_b32 vcc_lo, s1, vcc_lo
	s_wait_alu 0xfffe
	v_add_co_ci_u32_e32 v0, vcc_lo, 0, v0, vcc_lo
	v_cmp_gt_i32_e32 vcc_lo, 31, v17
	s_wait_alu 0xfffd
	s_delay_alu instid0(VALU_DEP_2)
	v_cndmask_b32_e32 v0, 0x7c00, v0, vcc_lo
	v_cmp_eq_u32_e32 vcc_lo, 0x40f, v17
	ds_load_2addr_b32 v[16:17], v149 offset0:104 offset1:212
	s_wait_alu 0xfffd
	v_cndmask_b32_e32 v0, v0, v7, vcc_lo
	v_lshrrev_b32_e32 v7, 16, v8
	s_delay_alu instid0(VALU_DEP_1) | instskip(NEXT) | instid1(VALU_DEP_1)
	v_and_or_b32 v0, 0x8000, v7, v0
	v_lshl_or_b32 v0, v0, 16, v1
	global_store_b32 v[12:13], v0, off
	s_wait_dscnt 0x0
	v_lshrrev_b32_e32 v23, 16, v16
	v_mul_f16_e32 v0, v27, v16
	v_add_co_u32 v12, vcc_lo, v12, s14
	s_wait_alu 0xfffd
	v_add_co_ci_u32_e32 v13, vcc_lo, s15, v13, vcc_lo
	s_delay_alu instid0(VALU_DEP_3) | instskip(NEXT) | instid1(VALU_DEP_1)
	v_fma_f16 v0, v26, v23, -v0
	v_cvt_f32_f16_e32 v0, v0
	s_delay_alu instid0(VALU_DEP_1) | instskip(NEXT) | instid1(VALU_DEP_1)
	v_cvt_f64_f32_e32 v[0:1], v0
	v_mul_f64_e32 v[0:1], s[10:11], v[0:1]
	s_delay_alu instid0(VALU_DEP_1) | instskip(SKIP_3) | instid1(VALU_DEP_4)
	v_and_or_b32 v0, 0x1ff, v1, v0
	v_lshrrev_b32_e32 v6, 8, v1
	v_bfe_u32 v7, v1, 20, 11
	v_lshrrev_b32_e32 v1, 16, v1
	v_cmp_ne_u32_e32 vcc_lo, 0, v0
	s_wait_alu 0xfffd
	v_cndmask_b32_e64 v0, 0, 1, vcc_lo
	s_delay_alu instid0(VALU_DEP_1) | instskip(SKIP_2) | instid1(VALU_DEP_3)
	v_and_or_b32 v6, 0xffe, v6, v0
	v_sub_nc_u32_e32 v0, 0x3f1, v7
	v_add_nc_u32_e32 v7, 0xfffffc10, v7
	v_or_b32_e32 v18, 0x1000, v6
	s_delay_alu instid0(VALU_DEP_3) | instskip(SKIP_1) | instid1(VALU_DEP_2)
	v_med3_i32 v0, v0, 0, 13
	v_cmp_ne_u32_e64 s6, 0, v6
	v_lshrrev_b32_e32 v8, v0, v18
	s_delay_alu instid0(VALU_DEP_1) | instskip(NEXT) | instid1(VALU_DEP_1)
	v_lshlrev_b32_e32 v0, v0, v8
	v_cmp_ne_u32_e32 vcc_lo, v0, v18
	v_cvt_f32_f16_e32 v0, v5
	s_delay_alu instid0(VALU_DEP_1) | instskip(NEXT) | instid1(VALU_DEP_1)
	v_cvt_f64_f32_e32 v[18:19], v0
	v_mul_f64_e32 v[18:19], s[10:11], v[18:19]
	s_delay_alu instid0(VALU_DEP_1) | instskip(SKIP_1) | instid1(VALU_DEP_2)
	v_and_or_b32 v0, 0x1ff, v19, v18
	v_lshrrev_b32_e32 v5, 8, v19
	v_cmp_ne_u32_e64 s1, 0, v0
	s_wait_alu 0xf1ff
	s_delay_alu instid0(VALU_DEP_1) | instskip(NEXT) | instid1(VALU_DEP_1)
	v_cndmask_b32_e64 v0, 0, 1, s1
	v_and_or_b32 v0, 0xffe, v5, v0
	v_bfe_u32 v5, v19, 20, 11
	s_delay_alu instid0(VALU_DEP_2) | instskip(NEXT) | instid1(VALU_DEP_2)
	v_or_b32_e32 v24, 0x1000, v0
	v_sub_nc_u32_e32 v18, 0x3f1, v5
	v_add_nc_u32_e32 v5, 0xfffffc10, v5
	v_cmp_ne_u32_e64 s4, 0, v0
	s_delay_alu instid0(VALU_DEP_3) | instskip(NEXT) | instid1(VALU_DEP_1)
	v_med3_i32 v18, v18, 0, 13
	v_lshrrev_b32_e32 v25, v18, v24
	s_delay_alu instid0(VALU_DEP_1) | instskip(NEXT) | instid1(VALU_DEP_1)
	v_lshlrev_b32_e32 v18, v18, v25
	v_cmp_ne_u32_e64 s1, v18, v24
	v_lshl_or_b32 v24, v5, 12, v0
	v_cndmask_b32_e64 v0, 0, 1, s2
	v_cmp_gt_i32_e64 s2, 1, v20
	s_wait_alu 0xf1ff
	v_cndmask_b32_e64 v18, 0, 1, s1
	v_cmp_gt_i32_e64 s1, 1, v5
	v_or_b32_e32 v0, v21, v0
	v_lshl_or_b32 v21, v20, 12, v14
	s_delay_alu instid0(VALU_DEP_4) | instskip(NEXT) | instid1(VALU_DEP_2)
	v_or_b32_e32 v18, v25, v18
	v_cndmask_b32_e64 v0, v21, v0, s2
	v_cndmask_b32_e64 v21, 0, 1, s4
	s_wait_alu 0xf1ff
	s_delay_alu instid0(VALU_DEP_3) | instskip(NEXT) | instid1(VALU_DEP_2)
	v_cndmask_b32_e64 v18, v24, v18, s1
	v_lshl_or_b32 v21, v21, 9, 0x7c00
	s_delay_alu instid0(VALU_DEP_2) | instskip(SKIP_1) | instid1(VALU_DEP_2)
	v_and_b32_e32 v24, 7, v18
	v_lshrrev_b32_e32 v18, 2, v18
	v_cmp_lt_i32_e64 s1, 5, v24
	v_cmp_eq_u32_e64 s3, 3, v24
	scratch_load_b32 v24, off, off offset:108 th:TH_LOAD_LU ; 4-byte Folded Reload
	s_or_b32 s1, s3, s1
	v_cmp_ne_u32_e64 s3, 0, v14
	s_wait_alu 0xfffe
	v_add_co_ci_u32_e64 v18, s1, 0, v18, s1
	v_cmp_gt_i32_e64 s1, 31, v5
	s_wait_alu 0xf1ff
	v_cndmask_b32_e64 v14, 0, 1, s3
	s_delay_alu instid0(VALU_DEP_2) | instskip(SKIP_1) | instid1(VALU_DEP_3)
	v_cndmask_b32_e64 v18, 0x7c00, v18, s1
	v_cmp_eq_u32_e64 s1, 0x40f, v5
	v_lshl_or_b32 v14, v14, 9, 0x7c00
	s_wait_alu 0xf1ff
	s_delay_alu instid0(VALU_DEP_2) | instskip(SKIP_3) | instid1(VALU_DEP_3)
	v_cndmask_b32_e64 v5, v18, v21, s1
	v_lshrrev_b32_e32 v18, 16, v19
	v_and_b32_e32 v19, 7, v0
	v_lshrrev_b32_e32 v0, 2, v0
	v_and_or_b32 v5, 0x8000, v18, v5
	s_delay_alu instid0(VALU_DEP_3) | instskip(SKIP_1) | instid1(VALU_DEP_3)
	v_cmp_lt_i32_e64 s1, 5, v19
	v_cmp_eq_u32_e64 s2, 3, v19
	v_and_b32_e32 v5, 0xffff, v5
	s_delay_alu instid0(VALU_DEP_2) | instskip(SKIP_4) | instid1(VALU_DEP_1)
	s_or_b32 s1, s2, s1
	s_wait_alu 0xfffe
	v_add_co_ci_u32_e64 v0, s1, 0, v0, s1
	v_cmp_gt_i32_e64 s1, 31, v20
	s_wait_alu 0xf1ff
	v_cndmask_b32_e64 v0, 0x7c00, v0, s1
	v_cmp_eq_u32_e64 s1, 0x40f, v20
	s_wait_alu 0xf1ff
	s_delay_alu instid0(VALU_DEP_1)
	v_cndmask_b32_e64 v0, v0, v14, s1
	v_lshrrev_b32_e32 v14, 16, v15
	scratch_load_b32 v15, off, off offset:120 th:TH_LOAD_LU ; 4-byte Folded Reload
	v_and_or_b32 v0, 0x8000, v14, v0
	scratch_load_b32 v14, off, off offset:124 th:TH_LOAD_LU ; 4-byte Folded Reload
	v_lshl_or_b32 v0, v0, 16, v5
	global_store_b32 v[12:13], v0, off
	v_mul_f16_e32 v0, v29, v22
	v_add_co_u32 v12, s1, v12, s8
	s_wait_alu 0xf1ff
	v_add_co_ci_u32_e64 v13, s1, s9, v13, s1
	s_delay_alu instid0(VALU_DEP_3) | instskip(SKIP_1) | instid1(VALU_DEP_2)
	v_fmac_f16_e32 v0, v28, v3
	v_lshrrev_b32_e32 v3, 16, v4
	v_cvt_f32_f16_e32 v0, v0
	s_wait_loadcnt 0x0
	s_delay_alu instid0(VALU_DEP_2) | instskip(SKIP_1) | instid1(VALU_DEP_2)
	v_mul_f16_e32 v5, v14, v3
	v_mul_f16_e32 v14, v14, v4
	v_fmac_f16_e32 v5, v15, v4
	s_delay_alu instid0(VALU_DEP_2) | instskip(SKIP_1) | instid1(VALU_DEP_3)
	v_fma_f16 v18, v15, v3, -v14
	v_cvt_f64_f32_e32 v[3:4], v0
	v_cvt_f32_f16_e32 v5, v5
	s_delay_alu instid0(VALU_DEP_2) | instskip(NEXT) | instid1(VALU_DEP_1)
	v_mul_f64_e32 v[3:4], s[10:11], v[3:4]
	v_and_or_b32 v0, 0x1ff, v4, v3
	v_lshrrev_b32_e32 v3, 8, v4
	s_delay_alu instid0(VALU_DEP_2) | instskip(SKIP_1) | instid1(VALU_DEP_1)
	v_cmp_ne_u32_e64 s1, 0, v0
	s_wait_alu 0xf1ff
	v_cndmask_b32_e64 v0, 0, 1, s1
	s_delay_alu instid0(VALU_DEP_1) | instskip(SKIP_2) | instid1(VALU_DEP_3)
	v_and_or_b32 v0, 0xffe, v3, v0
	v_bfe_u32 v3, v4, 20, 11
	v_lshrrev_b32_e32 v4, 16, v4
	v_or_b32_e32 v15, 0x1000, v0
	s_delay_alu instid0(VALU_DEP_3) | instskip(SKIP_1) | instid1(VALU_DEP_2)
	v_sub_nc_u32_e32 v14, 0x3f1, v3
	v_add_nc_u32_e32 v3, 0xfffffc10, v3
	v_med3_i32 v14, v14, 0, 13
	s_delay_alu instid0(VALU_DEP_1) | instskip(NEXT) | instid1(VALU_DEP_1)
	v_lshrrev_b32_e32 v19, v14, v15
	v_lshlrev_b32_e32 v14, v14, v19
	s_delay_alu instid0(VALU_DEP_1) | instskip(SKIP_2) | instid1(VALU_DEP_2)
	v_cmp_ne_u32_e64 s1, v14, v15
	v_lshl_or_b32 v15, v3, 12, v0
	s_wait_alu 0xf1ff
	v_cndmask_b32_e64 v14, 0, 1, s1
	v_cmp_gt_i32_e64 s1, 1, v3
	s_delay_alu instid0(VALU_DEP_2)
	v_or_b32_e32 v14, v19, v14
	v_mul_f16_e32 v19, v27, v23
	scratch_load_b32 v23, off, off offset:104 th:TH_LOAD_LU ; 4-byte Folded Reload
	s_wait_alu 0xf1ff
	v_cndmask_b32_e64 v14, v15, v14, s1
	v_fmac_f16_e32 v19, v26, v16
	s_delay_alu instid0(VALU_DEP_2) | instskip(NEXT) | instid1(VALU_DEP_1)
	v_and_b32_e32 v15, 7, v14
	v_cmp_lt_i32_e64 s1, 5, v15
	v_cmp_eq_u32_e64 s2, 3, v15
	v_cndmask_b32_e64 v15, 0, 1, s0
	v_cmp_ne_u32_e64 s0, 0, v0
	v_add_nc_u32_e32 v0, 0xfffffc10, v10
	s_delay_alu instid0(VALU_DEP_4) | instskip(NEXT) | instid1(VALU_DEP_3)
	s_or_b32 s1, s2, s1
	v_or_b32_e32 v11, v11, v15
	v_cmp_ne_u32_e64 s2, 0, v9
	s_delay_alu instid0(VALU_DEP_3) | instskip(SKIP_2) | instid1(VALU_DEP_1)
	v_lshl_or_b32 v10, v0, 12, v9
	v_cmp_gt_i32_e64 s3, 1, v0
	s_wait_alu 0xf1ff
	v_cndmask_b32_e64 v10, v10, v11, s3
	v_lshrrev_b32_e32 v11, 2, v14
	v_cndmask_b32_e64 v14, 0, 1, s0
	v_cmp_eq_u32_e64 s0, 0x40f, v3
	s_delay_alu instid0(VALU_DEP_4)
	v_lshrrev_b32_e32 v9, 2, v10
	s_wait_alu 0xfffe
	v_add_co_ci_u32_e64 v11, s1, 0, v11, s1
	v_cmp_gt_i32_e64 s1, 31, v3
	v_lshl_or_b32 v14, v14, 9, 0x7c00
	s_wait_alu 0xf1ff
	s_delay_alu instid0(VALU_DEP_2) | instskip(NEXT) | instid1(VALU_DEP_1)
	v_cndmask_b32_e64 v11, 0x7c00, v11, s1
	v_cndmask_b32_e64 v3, v11, v14, s0
	v_and_b32_e32 v11, 7, v10
	v_cndmask_b32_e64 v10, 0, 1, s2
	ds_load_2addr_b32 v[14:15], v190 offset0:32 offset1:140
	v_and_or_b32 v3, 0x8000, v4, v3
	v_cmp_lt_i32_e64 s0, 5, v11
	v_cmp_eq_u32_e64 s1, 3, v11
	v_lshl_or_b32 v10, v10, 9, 0x7c00
	s_delay_alu instid0(VALU_DEP_2) | instskip(SKIP_4) | instid1(VALU_DEP_1)
	s_or_b32 s0, s1, s0
	s_wait_alu 0xfffe
	v_add_co_ci_u32_e64 v9, s0, 0, v9, s0
	v_cmp_gt_i32_e64 s0, 31, v0
	s_wait_alu 0xf1ff
	v_cndmask_b32_e64 v9, 0x7c00, v9, s0
	v_cmp_eq_u32_e64 s0, 0x40f, v0
	s_wait_dscnt 0x0
	v_lshrrev_b32_e32 v20, 16, v14
	s_wait_alu 0xf1ff
	s_delay_alu instid0(VALU_DEP_2) | instskip(SKIP_3) | instid1(VALU_DEP_1)
	v_cndmask_b32_e64 v0, v9, v10, s0
	scratch_load_b32 v10, off, off offset:112 th:TH_LOAD_LU ; 4-byte Folded Reload
	v_and_or_b32 v0, 0x8000, v2, v0
	v_and_b32_e32 v2, 0xffff, v3
	v_lshl_or_b32 v0, v0, 16, v2
	scratch_load_b32 v2, off, off offset:116 th:TH_LOAD_LU ; 4-byte Folded Reload
	global_store_b32 v[12:13], v0, off
	v_lshrrev_b32_e32 v0, 16, v17
	v_add_co_u32 v12, s0, v12, s14
	s_wait_alu 0xf1ff
	v_add_co_ci_u32_e64 v13, s0, s15, v13, s0
	s_wait_loadcnt 0x0
	v_mul_f16_e32 v4, v2, v0
	v_mul_f16_e32 v9, v2, v17
	;; [unrolled: 1-line block ×3, first 2 shown]
	s_delay_alu instid0(VALU_DEP_3) | instskip(NEXT) | instid1(VALU_DEP_3)
	v_fmac_f16_e32 v4, v10, v17
	v_fma_f16 v9, v10, v0, -v9
	s_delay_alu instid0(VALU_DEP_3) | instskip(SKIP_1) | instid1(VALU_DEP_2)
	v_fma_f16 v2, v23, v20, -v2
	v_cvt_f32_f16_e32 v0, v18
	v_cvt_f32_f16_e32 v2, v2
	s_delay_alu instid0(VALU_DEP_1) | instskip(NEXT) | instid1(VALU_DEP_1)
	v_cvt_f64_f32_e32 v[2:3], v2
	v_mul_f64_e32 v[16:17], s[10:11], v[2:3]
	s_delay_alu instid0(VALU_DEP_1) | instskip(SKIP_2) | instid1(VALU_DEP_3)
	v_and_or_b32 v2, 0x1ff, v17, v16
	v_lshrrev_b32_e32 v3, 8, v17
	v_bfe_u32 v21, v17, 20, 11
	v_cmp_ne_u32_e64 s0, 0, v2
	s_wait_alu 0xf1ff
	s_delay_alu instid0(VALU_DEP_1) | instskip(NEXT) | instid1(VALU_DEP_1)
	v_cndmask_b32_e64 v2, 0, 1, s0
	v_and_or_b32 v16, 0xffe, v3, v2
	v_sub_nc_u32_e32 v2, 0x3f1, v21
	s_delay_alu instid0(VALU_DEP_2) | instskip(NEXT) | instid1(VALU_DEP_2)
	v_or_b32_e32 v3, 0x1000, v16
	v_med3_i32 v2, v2, 0, 13
	s_delay_alu instid0(VALU_DEP_1) | instskip(NEXT) | instid1(VALU_DEP_1)
	v_lshrrev_b32_e32 v22, v2, v3
	v_lshlrev_b32_e32 v2, v2, v22
	s_delay_alu instid0(VALU_DEP_1) | instskip(SKIP_1) | instid1(VALU_DEP_1)
	v_cmp_ne_u32_e64 s1, v2, v3
	v_cvt_f64_f32_e32 v[2:3], v0
	v_mul_f64_e32 v[2:3], s[10:11], v[2:3]
	s_delay_alu instid0(VALU_DEP_1) | instskip(SKIP_2) | instid1(VALU_DEP_3)
	v_and_or_b32 v0, 0x1ff, v3, v2
	v_lshrrev_b32_e32 v2, 8, v3
	v_bfe_u32 v10, v3, 20, 11
	v_cmp_ne_u32_e64 s0, 0, v0
	s_wait_alu 0xf1ff
	s_delay_alu instid0(VALU_DEP_1) | instskip(NEXT) | instid1(VALU_DEP_1)
	v_cndmask_b32_e64 v0, 0, 1, s0
	v_and_or_b32 v2, 0xffe, v2, v0
	v_sub_nc_u32_e32 v0, 0x3f1, v10
	s_delay_alu instid0(VALU_DEP_2) | instskip(NEXT) | instid1(VALU_DEP_2)
	v_or_b32_e32 v18, 0x1000, v2
	v_med3_i32 v0, v0, 0, 13
	s_delay_alu instid0(VALU_DEP_1) | instskip(NEXT) | instid1(VALU_DEP_1)
	v_lshrrev_b32_e32 v11, v0, v18
	v_lshlrev_b32_e32 v0, v0, v11
	s_delay_alu instid0(VALU_DEP_1)
	v_cmp_ne_u32_e64 s0, v0, v18
	v_mul_f16_e32 v18, v24, v20
	scratch_load_b32 v20, off, off offset:100 th:TH_LOAD_LU ; 4-byte Folded Reload
	v_fmac_f16_e32 v18, v23, v14
	scratch_load_b32 v23, off, off offset:96 th:TH_LOAD_LU ; 4-byte Folded Reload
	v_lshrrev_b32_e32 v14, 16, v15
	s_wait_loadcnt 0x1
	s_delay_alu instid0(VALU_DEP_1) | instskip(SKIP_2) | instid1(VALU_DEP_2)
	v_mul_f16_e32 v0, v20, v14
	v_mul_f16_e32 v20, v20, v15
	s_wait_loadcnt 0x0
	v_fmac_f16_e32 v0, v23, v15
	s_delay_alu instid0(VALU_DEP_2) | instskip(SKIP_1) | instid1(VALU_DEP_3)
	v_fma_f16 v20, v23, v14, -v20
	v_cvt_f32_f16_e32 v14, v19
	v_cvt_f32_f16_e32 v0, v0
	s_delay_alu instid0(VALU_DEP_2) | instskip(NEXT) | instid1(VALU_DEP_1)
	v_cvt_f64_f32_e32 v[14:15], v14
	v_mul_f64_e32 v[14:15], s[10:11], v[14:15]
	s_delay_alu instid0(VALU_DEP_1) | instskip(SKIP_1) | instid1(VALU_DEP_2)
	v_and_or_b32 v14, 0x1ff, v15, v14
	v_lshrrev_b32_e32 v19, 8, v15
	v_cmp_ne_u32_e64 s2, 0, v14
	s_wait_alu 0xf1ff
	s_delay_alu instid0(VALU_DEP_1) | instskip(NEXT) | instid1(VALU_DEP_1)
	v_cndmask_b32_e64 v14, 0, 1, s2
	v_and_or_b32 v14, 0xffe, v19, v14
	v_bfe_u32 v19, v15, 20, 11
	s_delay_alu instid0(VALU_DEP_2) | instskip(NEXT) | instid1(VALU_DEP_2)
	v_or_b32_e32 v24, 0x1000, v14
	v_sub_nc_u32_e32 v23, 0x3f1, v19
	v_add_nc_u32_e32 v19, 0xfffffc10, v19
	v_cmp_ne_u32_e64 s3, 0, v14
	s_delay_alu instid0(VALU_DEP_3) | instskip(NEXT) | instid1(VALU_DEP_1)
	v_med3_i32 v23, v23, 0, 13
	v_lshrrev_b32_e32 v25, v23, v24
	s_delay_alu instid0(VALU_DEP_1) | instskip(NEXT) | instid1(VALU_DEP_1)
	v_lshlrev_b32_e32 v23, v23, v25
	v_cmp_ne_u32_e64 s2, v23, v24
	v_lshl_or_b32 v24, v19, 12, v14
	s_wait_alu 0xf1ff
	s_delay_alu instid0(VALU_DEP_2) | instskip(SKIP_1) | instid1(VALU_DEP_2)
	v_cndmask_b32_e64 v23, 0, 1, s2
	v_cmp_gt_i32_e64 s2, 1, v19
	v_or_b32_e32 v23, v25, v23
	s_wait_alu 0xf1ff
	s_delay_alu instid0(VALU_DEP_1) | instskip(SKIP_3) | instid1(VALU_DEP_2)
	v_cndmask_b32_e64 v23, v24, v23, s2
	s_wait_alu 0xfffd
	v_cndmask_b32_e64 v24, 0, 1, vcc_lo
	v_cmp_gt_i32_e32 vcc_lo, 1, v7
	v_or_b32_e32 v8, v8, v24
	v_lshl_or_b32 v24, v7, 12, v6
	v_lshrrev_b32_e32 v6, 2, v23
	s_wait_alu 0xfffd
	s_delay_alu instid0(VALU_DEP_2) | instskip(SKIP_1) | instid1(VALU_DEP_2)
	v_cndmask_b32_e32 v8, v24, v8, vcc_lo
	v_and_b32_e32 v24, 7, v23
	v_and_b32_e32 v14, 7, v8
	s_delay_alu instid0(VALU_DEP_2) | instskip(SKIP_2) | instid1(VALU_DEP_4)
	v_cmp_lt_i32_e32 vcc_lo, 5, v24
	v_cmp_eq_u32_e64 s2, 3, v24
	v_lshrrev_b32_e32 v8, 2, v8
	v_cmp_lt_i32_e64 s4, 5, v14
	v_cmp_eq_u32_e64 s5, 3, v14
	s_delay_alu instid0(VALU_DEP_4) | instskip(SKIP_4) | instid1(VALU_DEP_3)
	s_or_b32 vcc_lo, s2, vcc_lo
	v_cndmask_b32_e64 v14, 0, 1, s3
	s_wait_alu 0xfffe
	v_add_co_ci_u32_e32 v6, vcc_lo, 0, v6, vcc_lo
	v_cmp_gt_i32_e32 vcc_lo, 31, v19
	v_lshl_or_b32 v14, v14, 9, 0x7c00
	s_wait_alu 0xfffd
	s_delay_alu instid0(VALU_DEP_3) | instskip(SKIP_2) | instid1(VALU_DEP_2)
	v_cndmask_b32_e32 v6, 0x7c00, v6, vcc_lo
	v_cmp_eq_u32_e32 vcc_lo, 0x40f, v19
	s_wait_alu 0xfffd
	v_cndmask_b32_e32 v6, v6, v14, vcc_lo
	s_or_b32 vcc_lo, s5, s4
	v_lshrrev_b32_e32 v14, 16, v15
	s_wait_alu 0xfffe
	v_add_co_ci_u32_e32 v8, vcc_lo, 0, v8, vcc_lo
	v_cmp_gt_i32_e32 vcc_lo, 31, v7
	v_cndmask_b32_e64 v15, 0, 1, s6
	v_and_or_b32 v6, 0x8000, v14, v6
	s_wait_alu 0xfffd
	v_cndmask_b32_e32 v8, 0x7c00, v8, vcc_lo
	s_delay_alu instid0(VALU_DEP_3) | instskip(SKIP_2) | instid1(VALU_DEP_2)
	v_lshl_or_b32 v15, v15, 9, 0x7c00
	v_cmp_eq_u32_e32 vcc_lo, 0x40f, v7
	s_wait_alu 0xfffd
	v_dual_cndmask_b32 v7, v8, v15 :: v_dual_and_b32 v6, 0xffff, v6
	s_delay_alu instid0(VALU_DEP_1) | instskip(NEXT) | instid1(VALU_DEP_1)
	v_and_or_b32 v1, 0x8000, v1, v7
	v_lshl_or_b32 v1, v1, 16, v6
	v_add_co_u32 v6, vcc_lo, v12, s14
	s_wait_alu 0xfffd
	v_add_co_ci_u32_e32 v7, vcc_lo, s15, v13, vcc_lo
	global_store_b32 v[12:13], v1, off
	v_cvt_f32_f16_e32 v1, v18
	s_delay_alu instid0(VALU_DEP_1) | instskip(NEXT) | instid1(VALU_DEP_1)
	v_cvt_f64_f32_e32 v[12:13], v1
	v_mul_f64_e32 v[12:13], s[10:11], v[12:13]
	s_delay_alu instid0(VALU_DEP_1) | instskip(SKIP_1) | instid1(VALU_DEP_2)
	v_and_or_b32 v1, 0x1ff, v13, v12
	v_lshrrev_b32_e32 v8, 8, v13
	v_cmp_ne_u32_e32 vcc_lo, 0, v1
	s_wait_alu 0xfffd
	v_cndmask_b32_e64 v1, 0, 1, vcc_lo
	s_delay_alu instid0(VALU_DEP_1) | instskip(SKIP_1) | instid1(VALU_DEP_2)
	v_and_or_b32 v1, 0xffe, v8, v1
	v_bfe_u32 v8, v13, 20, 11
	v_or_b32_e32 v14, 0x1000, v1
	s_delay_alu instid0(VALU_DEP_2) | instskip(SKIP_1) | instid1(VALU_DEP_2)
	v_sub_nc_u32_e32 v12, 0x3f1, v8
	v_add_nc_u32_e32 v8, 0xfffffc10, v8
	v_med3_i32 v12, v12, 0, 13
	s_delay_alu instid0(VALU_DEP_1) | instskip(NEXT) | instid1(VALU_DEP_1)
	v_lshrrev_b32_e32 v15, v12, v14
	v_lshlrev_b32_e32 v12, v12, v15
	s_delay_alu instid0(VALU_DEP_1) | instskip(SKIP_4) | instid1(VALU_DEP_2)
	v_cmp_ne_u32_e32 vcc_lo, v12, v14
	v_lshl_or_b32 v14, v8, 12, v1
	s_wait_alu 0xfffd
	v_cndmask_b32_e64 v12, 0, 1, vcc_lo
	v_cmp_gt_i32_e32 vcc_lo, 1, v8
	v_or_b32_e32 v12, v15, v12
	s_wait_alu 0xfffd
	s_delay_alu instid0(VALU_DEP_1) | instskip(NEXT) | instid1(VALU_DEP_1)
	v_cndmask_b32_e32 v12, v14, v12, vcc_lo
	v_and_b32_e32 v14, 7, v12
	v_lshrrev_b32_e32 v12, 2, v12
	s_delay_alu instid0(VALU_DEP_2) | instskip(SKIP_4) | instid1(VALU_DEP_4)
	v_cmp_lt_i32_e32 vcc_lo, 5, v14
	v_cmp_eq_u32_e64 s2, 3, v14
	v_cndmask_b32_e64 v14, 0, 1, s1
	v_cmp_ne_u32_e64 s1, 0, v1
	v_add_nc_u32_e32 v1, 0xfffffc10, v21
	s_or_b32 vcc_lo, s2, vcc_lo
	s_delay_alu instid0(VALU_DEP_3)
	v_or_b32_e32 v14, v22, v14
	s_wait_alu 0xfffe
	v_add_co_ci_u32_e32 v12, vcc_lo, 0, v12, vcc_lo
	v_lshl_or_b32 v15, v1, 12, v16
	v_cmp_gt_i32_e64 s3, 1, v1
	v_cmp_gt_i32_e32 vcc_lo, 31, v8
	v_cmp_ne_u32_e64 s2, 0, v16
	s_wait_alu 0xf1ff
	s_delay_alu instid0(VALU_DEP_3) | instskip(SKIP_4) | instid1(VALU_DEP_3)
	v_cndmask_b32_e64 v14, v15, v14, s3
	v_cndmask_b32_e64 v15, 0, 1, s1
	s_wait_alu 0xfffd
	v_cndmask_b32_e32 v12, 0x7c00, v12, vcc_lo
	v_cmp_eq_u32_e32 vcc_lo, 0x40f, v8
	v_lshl_or_b32 v15, v15, 9, 0x7c00
	s_wait_alu 0xfffd
	s_delay_alu instid0(VALU_DEP_1) | instskip(SKIP_2) | instid1(VALU_DEP_2)
	v_cndmask_b32_e32 v8, v12, v15, vcc_lo
	v_lshrrev_b32_e32 v12, 16, v13
	v_and_b32_e32 v13, 7, v14
	v_and_or_b32 v8, 0x8000, v12, v8
	s_delay_alu instid0(VALU_DEP_2) | instskip(SKIP_4) | instid1(VALU_DEP_4)
	v_cmp_lt_i32_e32 vcc_lo, 5, v13
	v_cmp_eq_u32_e64 s1, 3, v13
	v_lshrrev_b32_e32 v13, 2, v14
	v_cndmask_b32_e64 v14, 0, 1, s2
	v_and_b32_e32 v8, 0xffff, v8
	s_or_b32 vcc_lo, s1, vcc_lo
	s_wait_alu 0xfffe
	v_add_co_ci_u32_e32 v13, vcc_lo, 0, v13, vcc_lo
	v_cmp_gt_i32_e32 vcc_lo, 31, v1
	v_lshl_or_b32 v14, v14, 9, 0x7c00
	s_wait_alu 0xfffd
	s_delay_alu instid0(VALU_DEP_3) | instskip(SKIP_2) | instid1(VALU_DEP_2)
	v_cndmask_b32_e32 v13, 0x7c00, v13, vcc_lo
	v_cmp_eq_u32_e32 vcc_lo, 0x40f, v1
	s_wait_alu 0xfffd
	v_cndmask_b32_e32 v1, v13, v14, vcc_lo
	v_lshrrev_b32_e32 v13, 16, v17
	v_add_co_u32 v12, vcc_lo, v6, s8
	ds_load_2addr_b32 v[17:18], v114 offset0:136 offset1:244
	v_and_or_b32 v1, 0x8000, v13, v1
	s_wait_alu 0xfffd
	v_add_co_ci_u32_e32 v13, vcc_lo, s9, v7, vcc_lo
	s_delay_alu instid0(VALU_DEP_2) | instskip(SKIP_2) | instid1(VALU_DEP_1)
	v_lshl_or_b32 v1, v1, 16, v8
	global_store_b32 v[6:7], v1, off
	v_cvt_f64_f32_e32 v[5:6], v5
	v_mul_f64_e32 v[5:6], s[10:11], v[5:6]
	s_delay_alu instid0(VALU_DEP_1) | instskip(SKIP_1) | instid1(VALU_DEP_2)
	v_and_or_b32 v1, 0x1ff, v6, v5
	v_lshrrev_b32_e32 v5, 8, v6
	v_cmp_ne_u32_e32 vcc_lo, 0, v1
	s_wait_alu 0xfffd
	v_cndmask_b32_e64 v1, 0, 1, vcc_lo
	s_delay_alu instid0(VALU_DEP_1) | instskip(SKIP_1) | instid1(VALU_DEP_2)
	v_and_or_b32 v1, 0xffe, v5, v1
	v_bfe_u32 v5, v6, 20, 11
	v_or_b32_e32 v8, 0x1000, v1
	s_delay_alu instid0(VALU_DEP_2) | instskip(SKIP_1) | instid1(VALU_DEP_2)
	v_sub_nc_u32_e32 v7, 0x3f1, v5
	v_add_nc_u32_e32 v5, 0xfffffc10, v5
	v_med3_i32 v7, v7, 0, 13
	s_delay_alu instid0(VALU_DEP_1) | instskip(NEXT) | instid1(VALU_DEP_1)
	v_lshrrev_b32_e32 v14, v7, v8
	v_lshlrev_b32_e32 v7, v7, v14
	s_delay_alu instid0(VALU_DEP_1) | instskip(SKIP_4) | instid1(VALU_DEP_2)
	v_cmp_ne_u32_e32 vcc_lo, v7, v8
	v_lshl_or_b32 v8, v5, 12, v1
	s_wait_alu 0xfffd
	v_cndmask_b32_e64 v7, 0, 1, vcc_lo
	v_cmp_gt_i32_e32 vcc_lo, 1, v5
	v_or_b32_e32 v7, v14, v7
	s_wait_alu 0xfffd
	s_delay_alu instid0(VALU_DEP_1) | instskip(SKIP_1) | instid1(VALU_DEP_1)
	v_cndmask_b32_e32 v14, v8, v7, vcc_lo
	v_cvt_f32_f16_e32 v7, v9
	v_cvt_f64_f32_e32 v[7:8], v7
	s_delay_alu instid0(VALU_DEP_1) | instskip(NEXT) | instid1(VALU_DEP_1)
	v_mul_f64_e32 v[7:8], s[10:11], v[7:8]
	v_and_or_b32 v7, 0x1ff, v8, v7
	v_lshrrev_b32_e32 v9, 8, v8
	s_delay_alu instid0(VALU_DEP_2) | instskip(SKIP_2) | instid1(VALU_DEP_1)
	v_cmp_ne_u32_e32 vcc_lo, 0, v7
	s_wait_alu 0xfffd
	v_cndmask_b32_e64 v7, 0, 1, vcc_lo
	v_and_or_b32 v19, 0xffe, v9, v7
	v_and_b32_e32 v7, 7, v14
	s_delay_alu instid0(VALU_DEP_1) | instskip(SKIP_4) | instid1(VALU_DEP_4)
	v_cmp_lt_i32_e32 vcc_lo, 5, v7
	v_cmp_eq_u32_e64 s1, 3, v7
	v_cndmask_b32_e64 v7, 0, 1, s0
	v_cmp_ne_u32_e64 s0, 0, v1
	v_add_nc_u32_e32 v1, 0xfffffc10, v10
	s_or_b32 vcc_lo, s1, vcc_lo
	s_delay_alu instid0(VALU_DEP_3) | instskip(NEXT) | instid1(VALU_DEP_3)
	v_or_b32_e32 v7, v11, v7
	v_cndmask_b32_e64 v10, 0, 1, s0
	s_delay_alu instid0(VALU_DEP_3) | instskip(SKIP_2) | instid1(VALU_DEP_4)
	v_lshl_or_b32 v9, v1, 12, v2
	v_cmp_gt_i32_e64 s2, 1, v1
	v_cmp_ne_u32_e64 s1, 0, v2
	v_lshl_or_b32 v10, v10, 9, 0x7c00
	s_wait_alu 0xf1ff
	s_delay_alu instid0(VALU_DEP_3) | instskip(SKIP_1) | instid1(VALU_DEP_2)
	v_cndmask_b32_e64 v7, v9, v7, s2
	v_lshrrev_b32_e32 v9, 2, v14
	v_lshrrev_b32_e32 v2, 2, v7
	s_wait_alu 0xfffe
	s_delay_alu instid0(VALU_DEP_2) | instskip(SKIP_2) | instid1(VALU_DEP_2)
	v_add_co_ci_u32_e32 v9, vcc_lo, 0, v9, vcc_lo
	v_cmp_gt_i32_e32 vcc_lo, 31, v5
	s_wait_alu 0xfffd
	v_cndmask_b32_e32 v9, 0x7c00, v9, vcc_lo
	v_cmp_eq_u32_e32 vcc_lo, 0x40f, v5
	s_wait_alu 0xfffd
	s_delay_alu instid0(VALU_DEP_2) | instskip(SKIP_1) | instid1(VALU_DEP_1)
	v_cndmask_b32_e32 v5, v9, v10, vcc_lo
	v_and_b32_e32 v9, 7, v7
	v_cmp_lt_i32_e32 vcc_lo, 5, v9
	v_cmp_eq_u32_e64 s0, 3, v9
	v_lshrrev_b32_e32 v9, 16, v6
	v_cndmask_b32_e64 v6, 0, 1, s1
	s_delay_alu instid0(VALU_DEP_3)
	s_or_b32 vcc_lo, s0, vcc_lo
	v_add_co_u32 v11, s0, v12, s14
	s_wait_alu 0xfffe
	v_add_co_ci_u32_e32 v2, vcc_lo, 0, v2, vcc_lo
	v_cmp_gt_i32_e32 vcc_lo, 31, v1
	v_lshl_or_b32 v6, v6, 9, 0x7c00
	s_wait_alu 0xfffd
	s_delay_alu instid0(VALU_DEP_3)
	v_cndmask_b32_e32 v2, 0x7c00, v2, vcc_lo
	v_cmp_eq_u32_e32 vcc_lo, 0x40f, v1
	v_cvt_f32_f16_e32 v1, v20
	v_bfe_u32 v20, v8, 20, 11
	v_lshrrev_b32_e32 v8, 16, v8
	s_wait_alu 0xfffd
	v_cndmask_b32_e32 v10, v2, v6, vcc_lo
	v_cvt_f64_f32_e32 v[1:2], v1
	s_delay_alu instid0(VALU_DEP_1) | instskip(SKIP_4) | instid1(VALU_DEP_4)
	v_mul_f64_e32 v[6:7], s[10:11], v[1:2]
	v_lshrrev_b32_e32 v1, 16, v3
	v_sub_nc_u32_e32 v3, 0x3f1, v20
	v_and_or_b32 v2, 0x8000, v9, v5
	v_or_b32_e32 v5, 0x1000, v19
	v_and_or_b32 v1, 0x8000, v1, v10
	s_delay_alu instid0(VALU_DEP_4) | instskip(NEXT) | instid1(VALU_DEP_4)
	v_med3_i32 v3, v3, 0, 13
	v_and_b32_e32 v2, 0xffff, v2
	s_delay_alu instid0(VALU_DEP_2) | instskip(NEXT) | instid1(VALU_DEP_2)
	v_lshrrev_b32_e32 v21, v3, v5
	v_lshl_or_b32 v1, v1, 16, v2
	s_delay_alu instid0(VALU_DEP_2)
	v_lshlrev_b32_e32 v2, v3, v21
	scratch_load_b32 v3, off, off offset:92 th:TH_LOAD_LU ; 4-byte Folded Reload
	global_store_b32 v[12:13], v1, off
	s_wait_alu 0xf1ff
	v_add_co_ci_u32_e64 v12, s0, s15, v13, s0
	v_cmp_ne_u32_e32 vcc_lo, v2, v5
	v_and_or_b32 v1, 0x1ff, v7, v6
	scratch_load_b32 v6, off, off offset:88 th:TH_LOAD_LU ; 4-byte Folded Reload
	v_lshrrev_b32_e32 v2, 8, v7
	v_bfe_u32 v15, v7, 20, 11
	v_lshrrev_b32_e32 v7, 16, v7
	v_cmp_ne_u32_e64 s0, 0, v1
	s_wait_alu 0xf1ff
	s_delay_alu instid0(VALU_DEP_1) | instskip(NEXT) | instid1(VALU_DEP_1)
	v_cndmask_b32_e64 v1, 0, 1, s0
	v_and_or_b32 v14, 0xffe, v2, v1
	v_sub_nc_u32_e32 v1, 0x3f1, v15
	v_add_nc_u32_e32 v15, 0xfffffc10, v15
	s_delay_alu instid0(VALU_DEP_3) | instskip(NEXT) | instid1(VALU_DEP_3)
	v_or_b32_e32 v2, 0x1000, v14
	v_med3_i32 v1, v1, 0, 13
	s_delay_alu instid0(VALU_DEP_1) | instskip(NEXT) | instid1(VALU_DEP_1)
	v_lshrrev_b32_e32 v16, v1, v2
	v_lshlrev_b32_e32 v1, v1, v16
	s_delay_alu instid0(VALU_DEP_1) | instskip(SKIP_4) | instid1(VALU_DEP_2)
	v_cmp_ne_u32_e64 s1, v1, v2
	s_wait_dscnt 0x0
	v_lshrrev_b32_e32 v1, 16, v17
	s_wait_loadcnt 0x1
	v_mul_f16_e32 v2, v3, v17
	v_mul_f16_e32 v3, v3, v1
	s_wait_loadcnt 0x0
	s_delay_alu instid0(VALU_DEP_1) | instskip(NEXT) | instid1(VALU_DEP_3)
	v_fmac_f16_e32 v3, v6, v17
	v_fma_f16 v5, v6, v1, -v2
	s_delay_alu instid0(VALU_DEP_2) | instskip(NEXT) | instid1(VALU_DEP_1)
	v_cvt_f32_f16_e32 v1, v3
	v_cvt_f64_f32_e32 v[1:2], v1
	s_delay_alu instid0(VALU_DEP_1) | instskip(NEXT) | instid1(VALU_DEP_1)
	v_mul_f64_e32 v[1:2], s[10:11], v[1:2]
	v_and_or_b32 v1, 0x1ff, v2, v1
	v_lshrrev_b32_e32 v3, 8, v2
	v_bfe_u32 v9, v2, 20, 11
	s_delay_alu instid0(VALU_DEP_3) | instskip(SKIP_1) | instid1(VALU_DEP_1)
	v_cmp_ne_u32_e64 s0, 0, v1
	s_wait_alu 0xf1ff
	v_cndmask_b32_e64 v1, 0, 1, s0
	s_delay_alu instid0(VALU_DEP_1) | instskip(SKIP_1) | instid1(VALU_DEP_2)
	v_and_or_b32 v3, 0xffe, v3, v1
	v_sub_nc_u32_e32 v1, 0x3f1, v9
	v_or_b32_e32 v6, 0x1000, v3
	s_delay_alu instid0(VALU_DEP_2) | instskip(NEXT) | instid1(VALU_DEP_1)
	v_med3_i32 v1, v1, 0, 13
	v_lshrrev_b32_e32 v10, v1, v6
	s_delay_alu instid0(VALU_DEP_1) | instskip(NEXT) | instid1(VALU_DEP_1)
	v_lshlrev_b32_e32 v1, v1, v10
	v_cmp_ne_u32_e64 s0, v1, v6
	v_cvt_f32_f16_e32 v1, v5
	s_delay_alu instid0(VALU_DEP_1) | instskip(NEXT) | instid1(VALU_DEP_1)
	v_cvt_f64_f32_e32 v[5:6], v1
	v_mul_f64_e32 v[5:6], s[10:11], v[5:6]
	s_delay_alu instid0(VALU_DEP_1) | instskip(SKIP_2) | instid1(VALU_DEP_3)
	v_and_or_b32 v1, 0x1ff, v6, v5
	v_lshrrev_b32_e32 v5, 8, v6
	v_bfe_u32 v17, v6, 20, 11
	v_cmp_ne_u32_e64 s2, 0, v1
	s_wait_alu 0xf1ff
	s_delay_alu instid0(VALU_DEP_1) | instskip(NEXT) | instid1(VALU_DEP_1)
	v_cndmask_b32_e64 v1, 0, 1, s2
	v_and_or_b32 v13, 0xffe, v5, v1
	v_sub_nc_u32_e32 v1, 0x3f1, v17
	s_delay_alu instid0(VALU_DEP_2) | instskip(NEXT) | instid1(VALU_DEP_2)
	v_or_b32_e32 v5, 0x1000, v13
	v_med3_i32 v1, v1, 0, 13
	s_delay_alu instid0(VALU_DEP_1) | instskip(NEXT) | instid1(VALU_DEP_1)
	v_lshrrev_b32_e32 v23, v1, v5
	v_lshlrev_b32_e32 v1, v1, v23
	s_delay_alu instid0(VALU_DEP_1) | instskip(SKIP_1) | instid1(VALU_DEP_1)
	v_cmp_ne_u32_e64 s2, v1, v5
	v_cvt_f32_f16_e32 v1, v4
	v_cvt_f64_f32_e32 v[4:5], v1
	s_delay_alu instid0(VALU_DEP_1) | instskip(NEXT) | instid1(VALU_DEP_1)
	v_mul_f64_e32 v[4:5], s[10:11], v[4:5]
	v_and_or_b32 v1, 0x1ff, v5, v4
	v_lshrrev_b32_e32 v4, 8, v5
	s_delay_alu instid0(VALU_DEP_2) | instskip(SKIP_1) | instid1(VALU_DEP_1)
	v_cmp_ne_u32_e64 s3, 0, v1
	s_wait_alu 0xf1ff
	v_cndmask_b32_e64 v1, 0, 1, s3
	s_delay_alu instid0(VALU_DEP_1) | instskip(SKIP_2) | instid1(VALU_DEP_3)
	v_and_or_b32 v1, 0xffe, v4, v1
	v_bfe_u32 v4, v5, 20, 11
	v_lshrrev_b32_e32 v5, 16, v5
	v_or_b32_e32 v24, 0x1000, v1
	s_delay_alu instid0(VALU_DEP_3) | instskip(SKIP_1) | instid1(VALU_DEP_2)
	v_sub_nc_u32_e32 v22, 0x3f1, v4
	v_add_nc_u32_e32 v4, 0xfffffc10, v4
	v_med3_i32 v22, v22, 0, 13
	s_delay_alu instid0(VALU_DEP_1) | instskip(NEXT) | instid1(VALU_DEP_1)
	v_lshrrev_b32_e32 v25, v22, v24
	v_lshlrev_b32_e32 v22, v22, v25
	s_delay_alu instid0(VALU_DEP_1) | instskip(SKIP_2) | instid1(VALU_DEP_2)
	v_cmp_ne_u32_e64 s3, v22, v24
	v_lshl_or_b32 v24, v4, 12, v1
	s_wait_alu 0xf1ff
	v_cndmask_b32_e64 v22, 0, 1, s3
	v_cmp_gt_i32_e64 s3, 1, v4
	s_delay_alu instid0(VALU_DEP_2) | instskip(SKIP_2) | instid1(VALU_DEP_2)
	v_or_b32_e32 v22, v25, v22
	v_lshrrev_b32_e32 v25, 16, v18
	s_wait_alu 0xf1ff
	v_cndmask_b32_e64 v22, v24, v22, s3
	s_delay_alu instid0(VALU_DEP_1) | instskip(NEXT) | instid1(VALU_DEP_1)
	v_and_b32_e32 v24, 7, v22
	v_cmp_lt_i32_e64 s3, 5, v24
	v_cmp_eq_u32_e64 s4, 3, v24
	s_wait_alu 0xfffd
	v_cndmask_b32_e64 v24, 0, 1, vcc_lo
	v_cmp_ne_u32_e32 vcc_lo, 0, v1
	v_add_nc_u32_e32 v1, 0xfffffc10, v20
	s_or_b32 s3, s4, s3
	s_delay_alu instid0(VALU_DEP_3) | instskip(SKIP_1) | instid1(VALU_DEP_3)
	v_or_b32_e32 v21, v21, v24
	v_cmp_ne_u32_e64 s4, 0, v19
	v_lshl_or_b32 v20, v1, 12, v19
	v_cmp_gt_i32_e64 s5, 1, v1
	s_wait_alu 0xf1ff
	s_delay_alu instid0(VALU_DEP_1)
	v_cndmask_b32_e64 v20, v20, v21, s5
	v_lshrrev_b32_e32 v21, 2, v22
	s_wait_alu 0xfffd
	v_cndmask_b32_e64 v22, 0, 1, vcc_lo
	v_cmp_eq_u32_e32 vcc_lo, 0x40f, v4
	v_lshrrev_b32_e32 v19, 2, v20
	s_wait_alu 0xfffe
	v_add_co_ci_u32_e64 v21, s3, 0, v21, s3
	v_cmp_gt_i32_e64 s3, 31, v4
	v_lshl_or_b32 v22, v22, 9, 0x7c00
	s_wait_alu 0xf1ff
	s_delay_alu instid0(VALU_DEP_2) | instskip(SKIP_1) | instid1(VALU_DEP_1)
	v_cndmask_b32_e64 v21, 0x7c00, v21, s3
	s_wait_alu 0xfffd
	v_dual_cndmask_b32 v4, v21, v22 :: v_dual_and_b32 v21, 7, v20
	v_cndmask_b32_e64 v20, 0, 1, s4
	s_delay_alu instid0(VALU_DEP_2) | instskip(NEXT) | instid1(VALU_DEP_3)
	v_and_or_b32 v4, 0x8000, v5, v4
	v_cmp_lt_i32_e32 vcc_lo, 5, v21
	v_cmp_eq_u32_e64 s3, 3, v21
	s_delay_alu instid0(VALU_DEP_4)
	v_lshl_or_b32 v20, v20, 9, 0x7c00
	ds_load_2addr_b32 v[21:22], v223 offset0:64 offset1:172
	v_and_b32_e32 v4, 0xffff, v4
	s_or_b32 vcc_lo, s3, vcc_lo
	s_wait_alu 0xfffe
	v_add_co_ci_u32_e32 v19, vcc_lo, 0, v19, vcc_lo
	v_cmp_gt_i32_e32 vcc_lo, 31, v1
	s_wait_alu 0xfffd
	s_delay_alu instid0(VALU_DEP_2) | instskip(SKIP_2) | instid1(VALU_DEP_2)
	v_cndmask_b32_e32 v19, 0x7c00, v19, vcc_lo
	v_cmp_eq_u32_e32 vcc_lo, 0x40f, v1
	s_wait_alu 0xfffd
	v_cndmask_b32_e32 v1, v19, v20, vcc_lo
	v_add_co_u32 v19, vcc_lo, v11, s14
	s_wait_dscnt 0x0
	v_lshrrev_b32_e32 v24, 16, v21
	s_wait_alu 0xfffd
	v_add_co_ci_u32_e32 v20, vcc_lo, s15, v12, vcc_lo
	v_and_or_b32 v1, 0x8000, v8, v1
	s_delay_alu instid0(VALU_DEP_1) | instskip(SKIP_2) | instid1(VALU_DEP_1)
	v_lshl_or_b32 v1, v1, 16, v4
	global_store_b32 v[11:12], v1, off
	v_mul_f16_e32 v1, v32, v21
	v_fma_f16 v1, v31, v24, -v1
	s_delay_alu instid0(VALU_DEP_1) | instskip(NEXT) | instid1(VALU_DEP_1)
	v_cvt_f32_f16_e32 v1, v1
	v_cvt_f64_f32_e32 v[4:5], v1
	s_delay_alu instid0(VALU_DEP_1) | instskip(NEXT) | instid1(VALU_DEP_1)
	v_mul_f64_e32 v[4:5], s[10:11], v[4:5]
	v_and_or_b32 v1, 0x1ff, v5, v4
	v_lshrrev_b32_e32 v4, 8, v5
	v_bfe_u32 v11, v5, 20, 11
	v_lshrrev_b32_e32 v5, 16, v5
	s_delay_alu instid0(VALU_DEP_4) | instskip(SKIP_2) | instid1(VALU_DEP_1)
	v_cmp_ne_u32_e32 vcc_lo, 0, v1
	s_wait_alu 0xfffd
	v_cndmask_b32_e64 v1, 0, 1, vcc_lo
	v_and_or_b32 v8, 0xffe, v4, v1
	v_sub_nc_u32_e32 v1, 0x3f1, v11
	s_delay_alu instid0(VALU_DEP_2) | instskip(NEXT) | instid1(VALU_DEP_2)
	v_or_b32_e32 v4, 0x1000, v8
	v_med3_i32 v1, v1, 0, 13
	s_delay_alu instid0(VALU_DEP_1) | instskip(NEXT) | instid1(VALU_DEP_1)
	v_lshrrev_b32_e32 v12, v1, v4
	v_lshlrev_b32_e32 v1, v1, v12
	s_delay_alu instid0(VALU_DEP_1) | instskip(SKIP_3) | instid1(VALU_DEP_1)
	v_cmp_ne_u32_e32 vcc_lo, v1, v4
	scratch_load_b32 v1, off, off offset:76 th:TH_LOAD_LU ; 4-byte Folded Reload
	s_wait_loadcnt 0x0
	v_mul_f16_e32 v26, v1, v25
	v_fmac_f16_e32 v26, v30, v18
	v_mul_f16_e32 v18, v1, v18
	v_cvt_f64_f32_e32 v[0:1], v0
	s_delay_alu instid0(VALU_DEP_1) | instskip(NEXT) | instid1(VALU_DEP_1)
	v_mul_f64_e32 v[0:1], s[10:11], v[0:1]
	v_and_or_b32 v0, 0x1ff, v1, v0
	v_lshrrev_b32_e32 v4, 8, v1
	s_delay_alu instid0(VALU_DEP_2) | instskip(SKIP_1) | instid1(VALU_DEP_1)
	v_cmp_ne_u32_e64 s3, 0, v0
	s_wait_alu 0xf1ff
	v_cndmask_b32_e64 v0, 0, 1, s3
	s_delay_alu instid0(VALU_DEP_1) | instskip(SKIP_2) | instid1(VALU_DEP_3)
	v_and_or_b32 v0, 0xffe, v4, v0
	v_bfe_u32 v4, v1, 20, 11
	v_lshrrev_b32_e32 v1, 16, v1
	v_or_b32_e32 v28, 0x1000, v0
	s_delay_alu instid0(VALU_DEP_3) | instskip(SKIP_2) | instid1(VALU_DEP_3)
	v_sub_nc_u32_e32 v27, 0x3f1, v4
	v_add_nc_u32_e32 v4, 0xfffffc10, v4
	v_cmp_ne_u32_e64 s4, 0, v0
	v_med3_i32 v27, v27, 0, 13
	s_delay_alu instid0(VALU_DEP_1) | instskip(NEXT) | instid1(VALU_DEP_1)
	v_lshrrev_b32_e32 v29, v27, v28
	v_lshlrev_b32_e32 v27, v27, v29
	s_delay_alu instid0(VALU_DEP_1) | instskip(SKIP_2) | instid1(VALU_DEP_2)
	v_cmp_ne_u32_e64 s3, v27, v28
	v_lshl_or_b32 v28, v4, 12, v0
	s_wait_alu 0xf1ff
	v_cndmask_b32_e64 v27, 0, 1, s3
	v_cmp_gt_i32_e64 s3, 1, v4
	s_delay_alu instid0(VALU_DEP_2) | instskip(SKIP_1) | instid1(VALU_DEP_1)
	v_or_b32_e32 v27, v29, v27
	s_wait_alu 0xf1ff
	v_cndmask_b32_e64 v27, v28, v27, s3
	v_cndmask_b32_e64 v28, 0, 1, s1
	v_cmp_gt_i32_e64 s1, 1, v15
	s_delay_alu instid0(VALU_DEP_2) | instskip(SKIP_2) | instid1(VALU_DEP_1)
	v_or_b32_e32 v16, v16, v28
	v_lshl_or_b32 v28, v15, 12, v14
	s_wait_alu 0xf1ff
	v_cndmask_b32_e64 v16, v28, v16, s1
	v_and_b32_e32 v28, 7, v27
	s_delay_alu instid0(VALU_DEP_2) | instskip(NEXT) | instid1(VALU_DEP_2)
	v_and_b32_e32 v0, 7, v16
	v_cmp_lt_i32_e64 s1, 5, v28
	v_cmp_eq_u32_e64 s3, 3, v28
	s_delay_alu instid0(VALU_DEP_3) | instskip(SKIP_2) | instid1(VALU_DEP_4)
	v_cmp_lt_i32_e64 s5, 5, v0
	v_cmp_eq_u32_e64 s6, 3, v0
	v_lshrrev_b32_e32 v0, 2, v27
	s_or_b32 s1, s3, s1
	v_cndmask_b32_e64 v27, 0, 1, s4
	s_delay_alu instid0(VALU_DEP_3)
	s_or_b32 s3, s6, s5
	s_wait_alu 0xfffe
	v_add_co_ci_u32_e64 v0, s1, 0, v0, s1
	v_cmp_gt_i32_e64 s1, 31, v4
	v_lshl_or_b32 v27, v27, 9, 0x7c00
	s_wait_alu 0xf1ff
	s_delay_alu instid0(VALU_DEP_2)
	v_cndmask_b32_e64 v0, 0x7c00, v0, s1
	v_cmp_eq_u32_e64 s1, 0x40f, v4
	v_lshrrev_b32_e32 v4, 2, v16
	scratch_load_b32 v16, off, off offset:64 th:TH_LOAD_LU ; 4-byte Folded Reload
	s_wait_alu 0xf1ff
	v_cndmask_b32_e64 v0, v0, v27, s1
	v_cmp_ne_u32_e64 s1, 0, v14
	v_add_co_ci_u32_e64 v4, s3, 0, v4, s3
	v_cmp_gt_i32_e64 s3, 31, v15
	s_delay_alu instid0(VALU_DEP_4)
	v_and_or_b32 v0, 0x8000, v1, v0
	s_wait_alu 0xf1ff
	v_cndmask_b32_e64 v14, 0, 1, s1
	v_cmp_eq_u32_e64 s1, 0x40f, v15
	scratch_load_b32 v15, off, off offset:68 th:TH_LOAD_LU ; 4-byte Folded Reload
	v_cndmask_b32_e64 v4, 0x7c00, v4, s3
	v_and_b32_e32 v0, 0xffff, v0
	v_lshl_or_b32 v14, v14, 9, 0x7c00
	s_wait_alu 0xf1ff
	s_delay_alu instid0(VALU_DEP_1) | instskip(SKIP_1) | instid1(VALU_DEP_2)
	v_cndmask_b32_e64 v4, v4, v14, s1
	v_mul_f16_e32 v14, v32, v24
	v_and_or_b32 v1, 0x8000, v7, v4
	s_delay_alu instid0(VALU_DEP_2)
	v_fmac_f16_e32 v14, v31, v21
	scratch_load_b32 v21, off, off offset:56 th:TH_LOAD_LU ; 4-byte Folded Reload
	v_lshl_or_b32 v0, v1, 16, v0
	global_store_b32 v[19:20], v0, off
	ds_load_2addr_b32 v[0:1], v148 offset0:120 offset1:228
	s_wait_dscnt 0x0
	v_lshrrev_b32_e32 v4, 16, v0
	s_wait_loadcnt 0x1
	v_mul_f16_e32 v7, v15, v0
	s_delay_alu instid0(VALU_DEP_2) | instskip(NEXT) | instid1(VALU_DEP_2)
	v_mul_f16_e32 v15, v15, v4
	v_fma_f16 v4, v16, v4, -v7
	s_delay_alu instid0(VALU_DEP_2) | instskip(SKIP_2) | instid1(VALU_DEP_4)
	v_fmac_f16_e32 v15, v16, v0
	v_cndmask_b32_e64 v0, 0, 1, s0
	v_add_nc_u32_e32 v7, 0xfffffc10, v9
	v_cvt_f32_f16_e32 v4, v4
	s_delay_alu instid0(VALU_DEP_3) | instskip(NEXT) | instid1(VALU_DEP_3)
	v_or_b32_e32 v0, v10, v0
	v_lshl_or_b32 v9, v7, 12, v3
	v_cmp_gt_i32_e64 s0, 1, v7
	v_add_nc_u32_e32 v10, 0xfffffc10, v17
	s_wait_alu 0xf1ff
	s_delay_alu instid0(VALU_DEP_2) | instskip(SKIP_1) | instid1(VALU_DEP_3)
	v_cndmask_b32_e64 v0, v9, v0, s0
	v_cndmask_b32_e64 v9, 0, 1, s2
	v_lshl_or_b32 v16, v10, 12, v13
	v_cmp_gt_i32_e64 s0, 1, v10
	v_cmp_ne_u32_e64 s2, 0, v3
	s_delay_alu instid0(VALU_DEP_4) | instskip(SKIP_1) | instid1(VALU_DEP_1)
	v_or_b32_e32 v9, v23, v9
	s_wait_alu 0xf1ff
	v_cndmask_b32_e64 v9, v16, v9, s0
	v_and_b32_e32 v16, 7, v0
	v_lshrrev_b32_e32 v0, 2, v0
	s_delay_alu instid0(VALU_DEP_3) | instskip(NEXT) | instid1(VALU_DEP_3)
	v_and_b32_e32 v3, 7, v9
	v_cmp_lt_i32_e64 s0, 5, v16
	v_cmp_eq_u32_e64 s1, 3, v16
	s_delay_alu instid0(VALU_DEP_3) | instskip(SKIP_1) | instid1(VALU_DEP_3)
	v_cmp_lt_i32_e64 s3, 5, v3
	v_cmp_eq_u32_e64 s4, 3, v3
	s_or_b32 s0, s1, s0
	v_cndmask_b32_e64 v3, 0, 1, s2
	s_wait_alu 0xfffe
	v_add_co_ci_u32_e64 v0, s0, 0, v0, s0
	v_cmp_gt_i32_e64 s0, 31, v7
	s_delay_alu instid0(VALU_DEP_3) | instskip(SKIP_1) | instid1(VALU_DEP_2)
	v_lshl_or_b32 v3, v3, 9, 0x7c00
	s_wait_alu 0xf1ff
	v_cndmask_b32_e64 v0, 0x7c00, v0, s0
	v_cmp_eq_u32_e64 s0, 0x40f, v7
	v_lshrrev_b32_e32 v7, 16, v2
	v_lshrrev_b32_e32 v2, 2, v9
	s_wait_alu 0xf1ff
	s_delay_alu instid0(VALU_DEP_3)
	v_cndmask_b32_e64 v0, v0, v3, s0
	s_or_b32 s0, s4, s3
	s_wait_alu 0xfffe
	v_add_co_ci_u32_e64 v2, s0, 0, v2, s0
	v_cmp_ne_u32_e64 s0, 0, v13
	v_and_or_b32 v0, 0x8000, v7, v0
	s_wait_alu 0xf1ff
	s_delay_alu instid0(VALU_DEP_2) | instskip(SKIP_1) | instid1(VALU_DEP_3)
	v_cndmask_b32_e64 v3, 0, 1, s0
	v_cmp_gt_i32_e64 s0, 31, v10
	v_and_b32_e32 v0, 0xffff, v0
	s_delay_alu instid0(VALU_DEP_3) | instskip(SKIP_1) | instid1(VALU_DEP_3)
	v_lshl_or_b32 v13, v3, 9, 0x7c00
	s_wait_alu 0xf1ff
	v_cndmask_b32_e64 v9, 0x7c00, v2, s0
	v_cvt_f64_f32_e32 v[2:3], v4
	v_cmp_eq_u32_e64 s0, 0x40f, v10
	v_cvt_f32_f16_e32 v4, v14
	s_wait_alu 0xf1ff
	s_delay_alu instid0(VALU_DEP_2) | instskip(NEXT) | instid1(VALU_DEP_2)
	v_cndmask_b32_e64 v16, v9, v13, s0
	v_cvt_f64_f32_e32 v[9:10], v4
	v_mul_f64_e32 v[13:14], s[10:11], v[2:3]
	v_cvt_f32_f16_e32 v2, v15
	v_lshrrev_b32_e32 v15, 16, v6
	v_add_co_u32 v3, s0, v19, s8
	s_wait_alu 0xf1ff
	v_add_co_ci_u32_e64 v4, s0, s9, v20, s0
	v_cvt_f64_f32_e32 v[6:7], v2
	v_and_or_b32 v2, 0x8000, v15, v16
	v_fma_f16 v15, v30, v25, -v18
	v_mul_f64_e32 v[9:10], s[10:11], v[9:10]
	v_lshrrev_b32_e32 v16, 16, v22
	s_delay_alu instid0(VALU_DEP_4) | instskip(NEXT) | instid1(VALU_DEP_4)
	v_lshl_or_b32 v0, v2, 16, v0
	v_cvt_f32_f16_e32 v15, v15
	global_store_b32 v[3:4], v0, off
	v_and_or_b32 v13, 0x1ff, v14, v13
	v_bfe_u32 v17, v14, 20, 11
	s_delay_alu instid0(VALU_DEP_2) | instskip(SKIP_3) | instid1(VALU_DEP_3)
	v_cmp_ne_u32_e64 s0, 0, v13
	v_lshrrev_b32_e32 v13, 8, v14
	v_mul_f64_e32 v[6:7], s[10:11], v[6:7]
	s_wait_alu 0xf1ff
	v_cndmask_b32_e64 v2, 0, 1, s0
	v_add_co_u32 v3, s0, v3, s14
	s_wait_alu 0xf1ff
	v_add_co_ci_u32_e64 v4, s0, s15, v4, s0
	s_delay_alu instid0(VALU_DEP_3) | instskip(SKIP_4) | instid1(VALU_DEP_4)
	v_and_or_b32 v2, 0xffe, v13, v2
	v_sub_nc_u32_e32 v13, 0x3f1, v17
	v_lshrrev_b32_e32 v19, 8, v10
	v_bfe_u32 v20, v10, 20, 11
	v_add_nc_u32_e32 v17, 0xfffffc10, v17
	v_med3_i32 v0, v13, 0, 13
	v_or_b32_e32 v13, 0x1000, v2
	s_delay_alu instid0(VALU_DEP_1) | instskip(NEXT) | instid1(VALU_DEP_1)
	v_lshrrev_b32_e32 v18, v0, v13
	v_lshlrev_b32_e32 v0, v0, v18
	s_delay_alu instid0(VALU_DEP_1) | instskip(SKIP_3) | instid1(VALU_DEP_2)
	v_cmp_ne_u32_e64 s0, v0, v13
	scratch_load_b32 v13, off, off offset:60 th:TH_LOAD_LU ; 4-byte Folded Reload
	v_and_or_b32 v0, 0x1ff, v10, v9
	v_lshrrev_b32_e32 v10, 16, v10
	v_cmp_ne_u32_e64 s1, 0, v0
	v_and_or_b32 v6, 0x1ff, v7, v6
	v_lshrrev_b32_e32 v23, 16, v7
	s_wait_alu 0xf1ff
	s_delay_alu instid0(VALU_DEP_3) | instskip(NEXT) | instid1(VALU_DEP_1)
	v_cndmask_b32_e64 v0, 0, 1, s1
	v_and_or_b32 v0, 0xffe, v19, v0
	v_sub_nc_u32_e32 v19, 0x3f1, v20
	s_delay_alu instid0(VALU_DEP_1) | instskip(SKIP_3) | instid1(VALU_DEP_2)
	v_med3_i32 v19, v19, 0, 13
	s_wait_loadcnt 0x0
	v_mul_f16_e32 v9, v13, v16
	v_mul_f16_e32 v13, v13, v22
	v_fmac_f16_e32 v9, v21, v22
	s_delay_alu instid0(VALU_DEP_2) | instskip(SKIP_1) | instid1(VALU_DEP_3)
	v_fma_f16 v13, v21, v16, -v13
	v_or_b32_e32 v16, 0x1000, v0
	v_cvt_f32_f16_e32 v9, v9
	s_delay_alu instid0(VALU_DEP_3) | instskip(NEXT) | instid1(VALU_DEP_3)
	v_cvt_f32_f16_e32 v13, v13
	v_lshrrev_b32_e32 v21, v19, v16
	s_delay_alu instid0(VALU_DEP_1) | instskip(NEXT) | instid1(VALU_DEP_1)
	v_lshlrev_b32_e32 v19, v19, v21
	v_cmp_ne_u32_e64 s1, v19, v16
	v_add_nc_u32_e32 v19, 0xfffffc10, v20
	s_wait_alu 0xf1ff
	s_delay_alu instid0(VALU_DEP_2) | instskip(SKIP_1) | instid1(VALU_DEP_3)
	v_cndmask_b32_e64 v16, 0, 1, s1
	v_cmp_ne_u32_e64 s1, 0, v6
	v_lshl_or_b32 v20, v19, 12, v0
	s_delay_alu instid0(VALU_DEP_3) | instskip(SKIP_1) | instid1(VALU_DEP_3)
	v_or_b32_e32 v16, v21, v16
	s_wait_alu 0xf1ff
	v_cndmask_b32_e64 v6, 0, 1, s1
	v_cmp_gt_i32_e64 s1, 1, v19
	v_add_nc_u32_e32 v21, 0xfffffc10, v11
	s_wait_alu 0xf1ff
	s_delay_alu instid0(VALU_DEP_2) | instskip(SKIP_1) | instid1(VALU_DEP_1)
	v_cndmask_b32_e64 v16, v20, v16, s1
	v_lshrrev_b32_e32 v20, 8, v7
	v_and_or_b32 v6, 0xffe, v20, v6
	s_delay_alu instid0(VALU_DEP_3) | instskip(SKIP_1) | instid1(VALU_DEP_2)
	v_and_b32_e32 v20, 7, v16
	v_lshrrev_b32_e32 v16, 2, v16
	v_cmp_lt_i32_e64 s1, 5, v20
	v_cmp_eq_u32_e64 s2, 3, v20
	s_wait_alu 0xfffd
	v_cndmask_b32_e64 v20, 0, 1, vcc_lo
	v_cmp_gt_i32_e32 vcc_lo, 1, v21
	s_delay_alu instid0(VALU_DEP_2) | instskip(SKIP_3) | instid1(VALU_DEP_2)
	v_or_b32_e32 v11, v12, v20
	v_lshl_or_b32 v12, v21, 12, v8
	v_cvt_f32_f16_e32 v20, v26
	s_wait_alu 0xfffd
	v_cndmask_b32_e32 v22, v12, v11, vcc_lo
	s_or_b32 vcc_lo, s2, s1
	s_delay_alu instid0(VALU_DEP_2)
	v_cvt_f64_f32_e32 v[11:12], v20
	s_wait_alu 0xfffe
	v_add_co_ci_u32_e32 v16, vcc_lo, 0, v16, vcc_lo
	v_cmp_ne_u32_e32 vcc_lo, 0, v0
	s_wait_alu 0xfffd
	v_cndmask_b32_e64 v0, 0, 1, vcc_lo
	v_cmp_gt_i32_e32 vcc_lo, 31, v19
	s_delay_alu instid0(VALU_DEP_2)
	v_lshl_or_b32 v0, v0, 9, 0x7c00
	s_wait_alu 0xfffd
	v_cndmask_b32_e32 v20, 0x7c00, v16, vcc_lo
	v_cvt_f64_f32_e32 v[15:16], v15
	v_cmp_eq_u32_e32 vcc_lo, 0x40f, v19
	s_wait_alu 0xfffd
	s_delay_alu instid0(VALU_DEP_3) | instskip(NEXT) | instid1(VALU_DEP_1)
	v_dual_cndmask_b32 v0, v20, v0 :: v_dual_and_b32 v19, 7, v22
	v_cmp_lt_i32_e32 vcc_lo, 5, v19
	v_cmp_eq_u32_e64 s1, 3, v19
	v_lshrrev_b32_e32 v20, 2, v22
	v_bfe_u32 v19, v7, 20, 11
	v_and_or_b32 v0, 0x8000, v10, v0
	s_delay_alu instid0(VALU_DEP_4)
	s_or_b32 vcc_lo, s1, vcc_lo
	s_wait_alu 0xfffe
	v_add_co_ci_u32_e32 v20, vcc_lo, 0, v20, vcc_lo
	v_cmp_ne_u32_e32 vcc_lo, 0, v8
	v_sub_nc_u32_e32 v22, 0x3f1, v19
	v_add_nc_u32_e32 v19, 0xfffffc10, v19
	v_and_b32_e32 v0, 0xffff, v0
	s_wait_alu 0xfffd
	v_cndmask_b32_e64 v8, 0, 1, vcc_lo
	v_mul_f64_e32 v[11:12], s[10:11], v[11:12]
	v_cmp_gt_i32_e32 vcc_lo, 31, v21
	v_med3_i32 v22, v22, 0, 13
	s_delay_alu instid0(VALU_DEP_4)
	v_lshl_or_b32 v8, v8, 9, 0x7c00
	s_wait_alu 0xfffd
	v_cndmask_b32_e32 v20, 0x7c00, v20, vcc_lo
	v_cmp_eq_u32_e32 vcc_lo, 0x40f, v21
	v_or_b32_e32 v21, 0x1000, v6
	s_wait_alu 0xfffd
	s_delay_alu instid0(VALU_DEP_3) | instskip(NEXT) | instid1(VALU_DEP_2)
	v_cndmask_b32_e32 v8, v20, v8, vcc_lo
	v_lshrrev_b32_e32 v20, v22, v21
	v_mul_f64_e32 v[15:16], s[10:11], v[15:16]
	s_delay_alu instid0(VALU_DEP_3) | instskip(NEXT) | instid1(VALU_DEP_3)
	v_and_or_b32 v5, 0x8000, v5, v8
	v_lshlrev_b32_e32 v22, v22, v20
	v_lshl_or_b32 v8, v19, 12, v6
	s_delay_alu instid0(VALU_DEP_3) | instskip(SKIP_3) | instid1(VALU_DEP_1)
	v_lshl_or_b32 v0, v5, 16, v0
	v_cndmask_b32_e64 v5, 0, 1, s0
	global_store_b32 v[3:4], v0, off
	v_and_or_b32 v11, 0x1ff, v12, v11
	v_cmp_ne_u32_e32 vcc_lo, 0, v11
	s_wait_alu 0xfffd
	v_cndmask_b32_e64 v11, 0, 1, vcc_lo
	v_cmp_ne_u32_e32 vcc_lo, v22, v21
	v_lshrrev_b32_e32 v22, 8, v12
	v_and_or_b32 v10, 0x1ff, v16, v15
	s_wait_alu 0xfffd
	v_cndmask_b32_e64 v21, 0, 1, vcc_lo
	s_delay_alu instid0(VALU_DEP_3) | instskip(NEXT) | instid1(VALU_DEP_3)
	v_and_or_b32 v11, 0xffe, v22, v11
	v_cmp_ne_u32_e32 vcc_lo, 0, v10
	s_delay_alu instid0(VALU_DEP_3) | instskip(SKIP_4) | instid1(VALU_DEP_3)
	v_or_b32_e32 v15, v20, v21
	v_bfe_u32 v20, v12, 20, 11
	s_wait_alu 0xfffd
	v_cndmask_b32_e64 v10, 0, 1, vcc_lo
	v_cmp_gt_i32_e32 vcc_lo, 1, v19
	v_sub_nc_u32_e32 v21, 0x3f1, v20
	v_add_nc_u32_e32 v20, 0xfffffc10, v20
	s_wait_alu 0xfffd
	v_cndmask_b32_e32 v8, v8, v15, vcc_lo
	v_lshrrev_b32_e32 v15, 8, v16
	v_med3_i32 v21, v21, 0, 13
	s_delay_alu instid0(VALU_DEP_2) | instskip(NEXT) | instid1(VALU_DEP_4)
	v_and_or_b32 v15, 0xffe, v15, v10
	v_and_b32_e32 v10, 7, v8
	s_delay_alu instid0(VALU_DEP_1) | instskip(SKIP_4) | instid1(VALU_DEP_4)
	v_cmp_lt_i32_e32 vcc_lo, 5, v10
	v_cmp_eq_u32_e64 s0, 3, v10
	v_or_b32_e32 v10, v18, v5
	v_lshrrev_b32_e32 v5, 2, v8
	v_lshl_or_b32 v8, v17, 12, v2
	s_or_b32 vcc_lo, s0, vcc_lo
	s_wait_alu 0xfffe
	s_delay_alu instid0(VALU_DEP_2)
	v_add_co_ci_u32_e32 v18, vcc_lo, 0, v5, vcc_lo
	v_cmp_ne_u32_e32 vcc_lo, 0, v6
	v_cvt_f64_f32_e32 v[5:6], v9
	s_wait_alu 0xfffd
	v_cndmask_b32_e64 v22, 0, 1, vcc_lo
	v_cmp_gt_i32_e32 vcc_lo, 1, v17
	s_wait_alu 0xfffd
	v_cndmask_b32_e32 v9, v8, v10, vcc_lo
	v_or_b32_e32 v8, 0x1000, v11
	v_cmp_gt_i32_e32 vcc_lo, 31, v19
	s_wait_alu 0xfffd
	v_cndmask_b32_e32 v10, 0x7c00, v18, vcc_lo
	v_cmp_eq_u32_e32 vcc_lo, 0x40f, v19
	v_lshrrev_b32_e32 v19, v21, v8
	v_lshl_or_b32 v18, v22, 9, 0x7c00
	s_wait_alu 0xfffd
	s_delay_alu instid0(VALU_DEP_1) | instskip(SKIP_2) | instid1(VALU_DEP_3)
	v_dual_cndmask_b32 v10, v10, v18 :: v_dual_lshlrev_b32 v21, v21, v19
	v_and_b32_e32 v18, 7, v9
	v_lshrrev_b32_e32 v9, 2, v9
	v_cmp_ne_u32_e64 s1, v21, v8
	v_cvt_f64_f32_e32 v[7:8], v13
	s_delay_alu instid0(VALU_DEP_4)
	v_cmp_lt_i32_e32 vcc_lo, 5, v18
	v_cmp_eq_u32_e64 s0, 3, v18
	v_bfe_u32 v18, v16, 20, 11
	s_wait_alu 0xf1ff
	v_cndmask_b32_e64 v21, 0, 1, s1
	v_cmp_gt_i32_e64 s1, 1, v20
	v_and_or_b32 v10, 0x8000, v23, v10
	s_or_b32 vcc_lo, s0, vcc_lo
	v_sub_nc_u32_e32 v22, 0x3f1, v18
	s_wait_alu 0xfffe
	v_add_co_ci_u32_e32 v9, vcc_lo, 0, v9, vcc_lo
	v_or_b32_e32 v13, v19, v21
	v_lshl_or_b32 v19, v20, 12, v11
	v_cmp_ne_u32_e32 vcc_lo, 0, v2
	v_med3_i32 v21, v22, 0, 13
	scratch_load_b32 v22, off, off offset:48 th:TH_LOAD_LU ; 4-byte Folded Reload
	v_mul_f64_e32 v[5:6], s[10:11], v[5:6]
	v_cndmask_b32_e64 v13, v19, v13, s1
	s_wait_alu 0xfffd
	v_cndmask_b32_e64 v2, 0, 1, vcc_lo
	v_or_b32_e32 v19, 0x1000, v15
	v_cmp_gt_i32_e32 vcc_lo, 31, v17
	v_and_b32_e32 v10, 0xffff, v10
	v_and_b32_e32 v0, 7, v13
	v_lshl_or_b32 v2, v2, 9, 0x7c00
	v_lshrrev_b32_e32 v13, 2, v13
	s_wait_alu 0xfffd
	v_cndmask_b32_e32 v9, 0x7c00, v9, vcc_lo
	v_cmp_eq_u32_e32 vcc_lo, 0x40f, v17
	v_lshrrev_b32_e32 v17, v21, v19
	v_cmp_eq_u32_e64 s0, 3, v0
	s_wait_alu 0xfffd
	v_cndmask_b32_e32 v2, v9, v2, vcc_lo
	s_delay_alu instid0(VALU_DEP_3) | instskip(SKIP_1) | instid1(VALU_DEP_2)
	v_lshlrev_b32_e32 v21, v21, v17
	v_lshrrev_b32_e32 v9, 16, v14
	v_cmp_ne_u32_e32 vcc_lo, v21, v19
	scratch_load_b32 v21, off, off offset:52 th:TH_LOAD_LU ; 4-byte Folded Reload
	v_and_or_b32 v2, 0x8000, v9, v2
	v_mul_f64_e32 v[7:8], s[10:11], v[7:8]
	s_wait_alu 0xfffd
	v_cndmask_b32_e64 v14, 0, 1, vcc_lo
	v_cmp_lt_i32_e32 vcc_lo, 5, v0
	v_add_nc_u32_e32 v0, 0xfffffc10, v18
	v_lshl_or_b32 v18, v2, 16, v10
	s_delay_alu instid0(VALU_DEP_4) | instskip(SKIP_1) | instid1(VALU_DEP_3)
	v_or_b32_e32 v9, v17, v14
	s_or_b32 vcc_lo, s0, vcc_lo
	v_lshl_or_b32 v14, v0, 12, v15
	s_wait_alu 0xfffe
	v_add_co_ci_u32_e32 v13, vcc_lo, 0, v13, vcc_lo
	v_cmp_gt_i32_e32 vcc_lo, 1, v0
	v_lshrrev_b32_e32 v17, 16, v1
	v_and_or_b32 v2, 0x1ff, v6, v5
	s_wait_alu 0xfffd
	v_cndmask_b32_e32 v14, v14, v9, vcc_lo
	v_cmp_ne_u32_e32 vcc_lo, 0, v11
	s_wait_alu 0xfffd
	v_cndmask_b32_e64 v11, 0, 1, vcc_lo
	v_cmp_gt_i32_e32 vcc_lo, 31, v20
	s_delay_alu instid0(VALU_DEP_2)
	v_lshl_or_b32 v10, v11, 9, 0x7c00
	s_wait_alu 0xfffd
	v_cndmask_b32_e32 v5, 0x7c00, v13, vcc_lo
	v_cmp_ne_u32_e32 vcc_lo, 0, v2
	v_lshrrev_b32_e32 v11, 8, v6
	v_bfe_u32 v13, v6, 20, 11
	v_lshrrev_b32_e32 v6, 16, v6
	s_wait_alu 0xfffd
	v_cndmask_b32_e64 v2, 0, 1, vcc_lo
	v_cmp_eq_u32_e32 vcc_lo, 0x40f, v20
	v_lshrrev_b32_e32 v20, 16, v12
	v_and_or_b32 v7, 0x1ff, v8, v7
	v_lshrrev_b32_e32 v12, 8, v8
	v_and_or_b32 v19, 0xffe, v11, v2
	v_and_b32_e32 v11, 7, v14
	s_wait_alu 0xfffd
	v_cndmask_b32_e32 v5, v5, v10, vcc_lo
	v_sub_nc_u32_e32 v2, 0x3f1, v13
	s_delay_alu instid0(VALU_DEP_3) | instskip(SKIP_2) | instid1(VALU_DEP_4)
	v_cmp_lt_i32_e32 vcc_lo, 5, v11
	v_cmp_eq_u32_e64 s0, 3, v11
	v_lshrrev_b32_e32 v11, 2, v14
	v_med3_i32 v2, v2, 0, 13
	v_and_or_b32 v5, 0x8000, v20, v5
	s_delay_alu instid0(VALU_DEP_4)
	s_or_b32 vcc_lo, s0, vcc_lo
	s_wait_alu 0xfffe
	v_add_co_ci_u32_e32 v11, vcc_lo, 0, v11, vcc_lo
	v_cmp_ne_u32_e32 vcc_lo, 0, v15
	v_and_b32_e32 v5, 0xffff, v5
	s_wait_alu 0xfffd
	v_cndmask_b32_e64 v15, 0, 1, vcc_lo
	v_cmp_ne_u32_e32 vcc_lo, 0, v7
	s_wait_alu 0xfffd
	v_cndmask_b32_e64 v7, 0, 1, vcc_lo
	v_cmp_gt_i32_e32 vcc_lo, 31, v0
	s_delay_alu instid0(VALU_DEP_2) | instskip(SKIP_2) | instid1(VALU_DEP_1)
	v_and_or_b32 v7, 0xffe, v12, v7
	s_wait_loadcnt 0x0
	v_mul_f16_e32 v9, v21, v17
	v_fmac_f16_e32 v9, v22, v1
	v_mul_f16_e32 v1, v21, v1
	v_or_b32_e32 v21, 0x1000, v19
	s_delay_alu instid0(VALU_DEP_3) | instskip(NEXT) | instid1(VALU_DEP_3)
	v_cvt_f32_f16_e32 v9, v9
	v_fma_f16 v1, v22, v17, -v1
	s_delay_alu instid0(VALU_DEP_3)
	v_lshrrev_b32_e32 v14, v2, v21
	s_wait_alu 0xfffd
	v_cndmask_b32_e32 v22, 0x7c00, v11, vcc_lo
	v_bfe_u32 v17, v8, 20, 11
	v_cvt_f64_f32_e32 v[9:10], v9
	v_cvt_f32_f16_e32 v1, v1
	v_lshlrev_b32_e32 v2, v2, v14
	s_delay_alu instid0(VALU_DEP_2) | instskip(NEXT) | instid1(VALU_DEP_2)
	v_cvt_f64_f32_e32 v[11:12], v1
	v_cmp_ne_u32_e32 vcc_lo, v2, v21
	v_add_nc_u32_e32 v21, 0xfffffc10, v13
	v_sub_nc_u32_e32 v2, 0x3f1, v17
	v_lshl_or_b32 v13, v15, 9, 0x7c00
	v_or_b32_e32 v15, 0x1000, v7
	s_wait_alu 0xfffd
	v_cndmask_b32_e64 v1, 0, 1, vcc_lo
	v_lshl_or_b32 v23, v21, 12, v19
	v_cmp_gt_i32_e32 vcc_lo, 1, v21
	v_med3_i32 v24, v2, 0, 13
	s_delay_alu instid0(VALU_DEP_4)
	v_or_b32_e32 v14, v14, v1
	ds_load_2addr_b32 v[1:2], v134 offset0:96 offset1:204
	s_wait_alu 0xfffd
	v_cndmask_b32_e32 v14, v23, v14, vcc_lo
	v_cmp_eq_u32_e32 vcc_lo, 0x40f, v0
	s_wait_alu 0xfffd
	v_cndmask_b32_e32 v0, v22, v13, vcc_lo
	v_lshrrev_b32_e32 v13, 16, v16
	v_lshrrev_b32_e32 v16, v24, v15
	v_and_b32_e32 v22, 7, v14
	v_add_co_u32 v3, vcc_lo, v3, s14
	s_wait_alu 0xfffd
	v_add_co_ci_u32_e32 v4, vcc_lo, s15, v4, vcc_lo
	v_lshlrev_b32_e32 v23, v24, v16
	scratch_load_b32 v24, off, off offset:44 th:TH_LOAD_LU ; 4-byte Folded Reload
	v_mul_f64_e32 v[9:10], s[10:11], v[9:10]
	v_cmp_lt_i32_e32 vcc_lo, 5, v22
	v_cmp_eq_u32_e64 s0, 3, v22
	v_cmp_ne_u32_e64 s1, v23, v15
	scratch_load_b32 v23, off, off offset:40 th:TH_LOAD_LU ; 4-byte Folded Reload
	v_and_or_b32 v0, 0x8000, v13, v0
	v_lshrrev_b32_e32 v13, 2, v14
	v_add_nc_u32_e32 v15, 0xfffffc10, v17
	s_wait_alu 0xf1ff
	v_cndmask_b32_e64 v14, 0, 1, s1
	s_or_b32 vcc_lo, s0, vcc_lo
	s_wait_dscnt 0x0
	v_lshrrev_b32_e32 v17, 16, v1
	s_wait_alu 0xfffe
	v_add_co_ci_u32_e32 v13, vcc_lo, 0, v13, vcc_lo
	v_or_b32_e32 v14, v16, v14
	v_lshl_or_b32 v16, v15, 12, v7
	v_cmp_gt_i32_e32 vcc_lo, 1, v15
	v_mul_f64_e32 v[11:12], s[10:11], v[11:12]
	v_lshl_or_b32 v22, v0, 16, v5
	s_wait_alu 0xfffd
	v_cndmask_b32_e32 v16, v16, v14, vcc_lo
	v_cmp_ne_u32_e32 vcc_lo, 0, v19
	s_delay_alu instid0(VALU_DEP_2) | instskip(SKIP_3) | instid1(VALU_DEP_3)
	v_and_b32_e32 v0, 7, v16
	s_wait_alu 0xfffd
	v_cndmask_b32_e64 v14, 0, 1, vcc_lo
	v_cmp_gt_i32_e32 vcc_lo, 31, v21
	v_cmp_eq_u32_e64 s0, 3, v0
	s_wait_alu 0xfffd
	v_cndmask_b32_e32 v19, 0x7c00, v13, vcc_lo
	v_cmp_eq_u32_e32 vcc_lo, 0x40f, v21
	v_and_or_b32 v9, 0x1ff, v10, v9
	v_lshrrev_b32_e32 v21, 8, v12
	s_wait_loadcnt 0x1
	v_mul_f16_e32 v20, v24, v17
	s_wait_loadcnt 0x0
	s_delay_alu instid0(VALU_DEP_1) | instskip(SKIP_2) | instid1(VALU_DEP_3)
	v_fmac_f16_e32 v20, v23, v1
	v_mul_f16_e32 v1, v24, v1
	v_lshrrev_b32_e32 v24, 16, v8
	v_cvt_f32_f16_e32 v13, v20
	v_lshl_or_b32 v20, v14, 9, 0x7c00
	s_delay_alu instid0(VALU_DEP_4) | instskip(SKIP_1) | instid1(VALU_DEP_4)
	v_fma_f16 v1, v23, v17, -v1
	v_bfe_u32 v23, v12, 20, 11
	v_cvt_f64_f32_e32 v[13:14], v13
	s_wait_alu 0xfffd
	v_cndmask_b32_e32 v5, v19, v20, vcc_lo
	v_cmp_ne_u32_e32 vcc_lo, 0, v9
	v_lshrrev_b32_e32 v19, 8, v10
	v_bfe_u32 v20, v10, 20, 11
	v_cvt_f32_f16_e32 v1, v1
	s_wait_alu 0xfffd
	v_cndmask_b32_e64 v9, 0, 1, vcc_lo
	v_cmp_lt_i32_e32 vcc_lo, 5, v0
	v_sub_nc_u32_e32 v0, 0x3f1, v20
	v_add_nc_u32_e32 v20, 0xfffffc10, v20
	s_delay_alu instid0(VALU_DEP_4)
	v_and_or_b32 v9, 0xffe, v19, v9
	v_and_or_b32 v19, 0x8000, v6, v5
	v_lshrrev_b32_e32 v5, 2, v16
	s_or_b32 vcc_lo, s0, vcc_lo
	v_med3_i32 v0, v0, 0, 13
	v_or_b32_e32 v16, 0x1000, v9
	v_and_b32_e32 v19, 0xffff, v19
	s_wait_alu 0xfffe
	v_add_co_ci_u32_e32 v5, vcc_lo, 0, v5, vcc_lo
	v_cmp_ne_u32_e32 vcc_lo, 0, v7
	v_and_or_b32 v7, 0x1ff, v12, v11
	v_lshrrev_b32_e32 v17, v0, v16
	v_lshrrev_b32_e32 v12, 16, v12
	s_wait_alu 0xfffd
	v_cndmask_b32_e64 v6, 0, 1, vcc_lo
	v_cmp_gt_i32_e32 vcc_lo, 31, v15
	v_lshlrev_b32_e32 v0, v0, v17
	s_delay_alu instid0(VALU_DEP_3) | instskip(SKIP_4) | instid1(VALU_DEP_2)
	v_lshl_or_b32 v6, v6, 9, 0x7c00
	s_wait_alu 0xfffd
	v_cndmask_b32_e32 v5, 0x7c00, v5, vcc_lo
	v_cmp_eq_u32_e32 vcc_lo, 0x40f, v15
	s_wait_alu 0xfffd
	v_cndmask_b32_e32 v11, v5, v6, vcc_lo
	v_cmp_ne_u32_e32 vcc_lo, 0, v7
	v_mul_f64_e32 v[7:8], s[10:11], v[13:14]
	v_sub_nc_u32_e32 v13, 0x3f1, v23
	v_cvt_f64_f32_e32 v[5:6], v1
	v_and_or_b32 v11, 0x8000, v24, v11
	s_wait_alu 0xfffd
	v_cndmask_b32_e64 v15, 0, 1, vcc_lo
	v_cmp_ne_u32_e32 vcc_lo, v0, v16
	v_med3_i32 v25, v13, 0, 13
	ds_load_2addr_b32 v[0:1], v145 offset0:24 offset1:132
	v_lshl_or_b32 v11, v11, 16, v19
	v_and_or_b32 v15, 0xffe, v21, v15
	s_wait_alu 0xfffd
	v_cndmask_b32_e64 v16, 0, 1, vcc_lo
	v_add_co_u32 v13, vcc_lo, v3, s8
	s_wait_alu 0xfffd
	v_add_co_ci_u32_e32 v14, vcc_lo, s9, v4, vcc_lo
	v_or_b32_e32 v21, 0x1000, v15
	global_store_b32 v[3:4], v18, off
	global_store_b32 v[13:14], v22, off
	v_add_nc_u32_e32 v19, 0xfffffc10, v23
	s_clause 0x1
	scratch_load_b32 v23, off, off offset:32 th:TH_LOAD_LU
	scratch_load_b32 v26, off, off offset:28 th:TH_LOAD_LU
	v_lshrrev_b32_e32 v24, v25, v21
	v_or_b32_e32 v16, v17, v16
	v_lshl_or_b32 v17, v20, 12, v9
	v_cmp_gt_i32_e32 vcc_lo, 1, v20
	v_cmp_gt_i32_e64 s1, 1, v19
	v_lshlrev_b32_e32 v3, v25, v24
	s_clause 0x1
	scratch_load_b32 v25, off, off offset:36 th:TH_LOAD_LU
	scratch_load_b32 v28, off, off offset:12 th:TH_LOAD_LU
	s_wait_alu 0xfffd
	v_cndmask_b32_e32 v16, v17, v16, vcc_lo
	s_wait_dscnt 0x0
	v_lshrrev_b32_e32 v17, 16, v0
	v_cmp_ne_u32_e64 s0, v3, v21
	v_add_co_u32 v13, vcc_lo, v13, s14
	v_and_b32_e32 v4, 7, v16
	s_wait_alu 0xfffd
	v_add_co_ci_u32_e32 v14, vcc_lo, s15, v14, vcc_lo
	s_wait_alu 0xf1ff
	v_cndmask_b32_e64 v3, 0, 1, s0
	v_and_or_b32 v7, 0x1ff, v8, v7
	v_cmp_lt_i32_e32 vcc_lo, 5, v4
	v_cmp_eq_u32_e64 s0, 3, v4
	v_mul_f64_e32 v[4:5], s[10:11], v[5:6]
	v_or_b32_e32 v3, v24, v3
	v_lshl_or_b32 v6, v19, 12, v15
	v_lshrrev_b32_e32 v16, 2, v16
	v_lshrrev_b32_e32 v22, 8, v8
	s_or_b32 vcc_lo, s0, vcc_lo
	global_store_b32 v[13:14], v11, off
	v_cndmask_b32_e64 v3, v6, v3, s1
	v_cmp_ne_u32_e64 s1, 0, v7
	s_wait_alu 0xfffe
	v_add_co_ci_u32_e32 v16, vcc_lo, 0, v16, vcc_lo
	v_cmp_ne_u32_e32 vcc_lo, 0, v9
	s_wait_alu 0xf1ff
	v_cndmask_b32_e64 v21, 0, 1, s1
	v_cmp_gt_i32_e64 s1, 31, v20
	s_wait_alu 0xfffd
	v_cndmask_b32_e64 v9, 0, 1, vcc_lo
	s_delay_alu instid0(VALU_DEP_3)
	v_and_or_b32 v21, 0xffe, v22, v21
	v_and_b32_e32 v22, 7, v3
	v_lshrrev_b32_e32 v3, 2, v3
	s_wait_alu 0xf1ff
	v_cndmask_b32_e64 v16, 0x7c00, v16, s1
	v_lshl_or_b32 v9, v9, 9, 0x7c00
	v_cmp_lt_i32_e32 vcc_lo, 5, v22
	v_cmp_eq_u32_e64 s0, 3, v22
	v_or_b32_e32 v22, 0x1000, v21
	s_delay_alu instid0(VALU_DEP_2)
	s_or_b32 vcc_lo, s0, vcc_lo
	s_wait_alu 0xfffe
	v_add_co_ci_u32_e32 v3, vcc_lo, 0, v3, vcc_lo
	v_cmp_eq_u32_e32 vcc_lo, 0x40f, v20
	v_lshrrev_b32_e32 v20, 16, v10
	v_and_or_b32 v4, 0x1ff, v5, v4
	s_wait_alu 0xfffd
	v_cndmask_b32_e32 v16, v16, v9, vcc_lo
	v_cmp_gt_i32_e32 vcc_lo, 31, v19
	s_delay_alu instid0(VALU_DEP_2) | instskip(NEXT) | instid1(VALU_DEP_1)
	v_and_or_b32 v16, 0x8000, v20, v16
	v_and_b32_e32 v16, 0xffff, v16
	s_wait_loadcnt 0x1
	v_mul_f16_e32 v18, v25, v17
	s_delay_alu instid0(VALU_DEP_1) | instskip(SKIP_1) | instid1(VALU_DEP_2)
	v_fmac_f16_e32 v18, v23, v0
	v_mul_f16_e32 v0, v25, v0
	v_cvt_f32_f16_e32 v18, v18
	s_delay_alu instid0(VALU_DEP_2) | instskip(NEXT) | instid1(VALU_DEP_2)
	v_fma_f16 v0, v23, v17, -v0
	v_cvt_f64_f32_e32 v[6:7], v18
	v_bfe_u32 v18, v8, 20, 11
	s_delay_alu instid0(VALU_DEP_3) | instskip(NEXT) | instid1(VALU_DEP_2)
	v_cvt_f32_f16_e32 v0, v0
	v_sub_nc_u32_e32 v17, 0x3f1, v18
	s_delay_alu instid0(VALU_DEP_2) | instskip(SKIP_4) | instid1(VALU_DEP_1)
	v_cvt_f64_f32_e32 v[9:10], v0
	s_wait_alu 0xfffd
	v_cndmask_b32_e32 v0, 0x7c00, v3, vcc_lo
	v_add_nc_u32_e32 v18, 0xfffffc10, v18
	v_med3_i32 v17, v17, 0, 13
	v_lshrrev_b32_e32 v23, v17, v22
	s_delay_alu instid0(VALU_DEP_1) | instskip(NEXT) | instid1(VALU_DEP_1)
	v_lshlrev_b32_e32 v17, v17, v23
	v_cmp_ne_u32_e32 vcc_lo, v17, v22
	v_lshrrev_b32_e32 v17, 8, v5
	v_bfe_u32 v22, v5, 20, 11
	v_lshrrev_b32_e32 v5, 16, v5
	s_wait_alu 0xfffd
	v_cndmask_b32_e64 v3, 0, 1, vcc_lo
	v_cmp_ne_u32_e32 vcc_lo, 0, v4
	s_delay_alu instid0(VALU_DEP_2)
	v_or_b32_e32 v3, v23, v3
	s_wait_alu 0xfffd
	v_cndmask_b32_e64 v4, 0, 1, vcc_lo
	v_cmp_ne_u32_e32 vcc_lo, 0, v15
	v_lshl_or_b32 v23, v18, 12, v21
	v_mul_f64_e32 v[6:7], s[10:11], v[6:7]
	s_delay_alu instid0(VALU_DEP_4)
	v_and_or_b32 v17, 0xffe, v17, v4
	s_wait_alu 0xfffd
	v_cndmask_b32_e64 v15, 0, 1, vcc_lo
	v_sub_nc_u32_e32 v4, 0x3f1, v22
	v_cmp_gt_i32_e32 vcc_lo, 1, v18
	v_mul_f64_e32 v[9:10], s[10:11], v[9:10]
	v_or_b32_e32 v24, 0x1000, v17
	v_lshl_or_b32 v15, v15, 9, 0x7c00
	v_med3_i32 v25, v4, 0, 13
	s_wait_alu 0xfffd
	v_cndmask_b32_e32 v23, v23, v3, vcc_lo
	v_cmp_eq_u32_e32 vcc_lo, 0x40f, v19
	ds_load_2addr_b32 v[3:4], v174 offset0:80 offset1:188
	v_and_b32_e32 v19, 7, v23
	s_wait_alu 0xfffd
	v_cndmask_b32_e32 v0, v0, v15, vcc_lo
	v_lshrrev_b32_e32 v15, v25, v24
	v_lshrrev_b32_e32 v11, 2, v23
	v_cmp_lt_i32_e32 vcc_lo, 5, v19
	v_cmp_eq_u32_e64 s0, 3, v19
	s_delay_alu instid0(VALU_DEP_4)
	v_lshlrev_b32_e32 v20, v25, v15
	scratch_load_b32 v25, off, off offset:24 th:TH_LOAD_LU ; 4-byte Folded Reload
	v_and_or_b32 v0, 0x8000, v12, v0
	v_add_nc_u32_e32 v19, 0xfffffc10, v22
	s_or_b32 vcc_lo, s0, vcc_lo
	v_cmp_ne_u32_e64 s1, v20, v24
	s_wait_alu 0xfffe
	v_add_co_ci_u32_e32 v11, vcc_lo, 0, v11, vcc_lo
	v_cmp_ne_u32_e32 vcc_lo, 0, v21
	v_lshl_or_b32 v0, v0, 16, v16
	s_wait_alu 0xf1ff
	v_cndmask_b32_e64 v12, 0, 1, s1
	s_wait_dscnt 0x0
	v_lshrrev_b32_e32 v20, 16, v3
	v_cmp_eq_u32_e64 s1, 0x40f, v18
	s_wait_alu 0xfffd
	v_cndmask_b32_e64 v21, 0, 1, vcc_lo
	v_cmp_gt_i32_e32 vcc_lo, 1, v19
	v_or_b32_e32 v12, v15, v12
	v_lshl_or_b32 v15, v19, 12, v17
	v_and_or_b32 v6, 0x1ff, v7, v6
	v_lshrrev_b32_e32 v23, 8, v7
	v_bfe_u32 v24, v7, 20, 11
	v_lshl_or_b32 v21, v21, 9, 0x7c00
	s_wait_alu 0xfffd
	v_cndmask_b32_e32 v15, v15, v12, vcc_lo
	v_cmp_gt_i32_e32 vcc_lo, 31, v18
	v_mul_f16_e32 v12, v26, v20
	v_and_or_b32 v9, 0x1ff, v10, v9
	v_bfe_u32 v27, v10, 20, 11
	s_wait_alu 0xfffd
	v_cndmask_b32_e32 v22, 0x7c00, v11, vcc_lo
	v_and_b32_e32 v11, 7, v15
	v_cmp_ne_u32_e32 vcc_lo, 0, v6
	v_lshrrev_b32_e32 v15, 2, v15
	s_wait_alu 0xf1ff
	v_cndmask_b32_e64 v18, v22, v21, s1
	v_cmp_eq_u32_e64 s0, 3, v11
	s_wait_alu 0xfffd
	v_cndmask_b32_e64 v6, 0, 1, vcc_lo
	v_cmp_lt_i32_e32 vcc_lo, 5, v11
	s_delay_alu instid0(VALU_DEP_2)
	v_and_or_b32 v6, 0xffe, v23, v6
	s_or_b32 vcc_lo, s0, vcc_lo
	v_sub_nc_u32_e32 v23, 0x3f1, v24
	s_wait_alu 0xfffe
	v_add_co_ci_u32_e32 v15, vcc_lo, 0, v15, vcc_lo
	v_cmp_ne_u32_e32 vcc_lo, 0, v17
	v_or_b32_e32 v21, 0x1000, v6
	v_med3_i32 v22, v23, 0, 13
	s_wait_alu 0xfffd
	v_cndmask_b32_e64 v17, 0, 1, vcc_lo
	v_cmp_gt_i32_e32 vcc_lo, 31, v19
	s_delay_alu instid0(VALU_DEP_3) | instskip(NEXT) | instid1(VALU_DEP_3)
	v_lshrrev_b32_e32 v23, v22, v21
	v_lshl_or_b32 v17, v17, 9, 0x7c00
	s_wait_alu 0xfffd
	v_cndmask_b32_e32 v15, 0x7c00, v15, vcc_lo
	v_cmp_ne_u32_e32 vcc_lo, 0, v9
	v_lshlrev_b32_e32 v22, v22, v23
	s_wait_loadcnt 0x0
	v_fmac_f16_e32 v12, v25, v3
	v_mul_f16_e32 v3, v26, v3
	v_lshrrev_b32_e32 v26, 8, v10
	v_lshrrev_b32_e32 v10, 16, v10
	s_delay_alu instid0(VALU_DEP_4) | instskip(NEXT) | instid1(VALU_DEP_4)
	v_cvt_f32_f16_e32 v12, v12
	v_fma_f16 v3, v25, v20, -v3
	s_wait_alu 0xfffd
	v_cndmask_b32_e64 v25, 0, 1, vcc_lo
	v_cmp_ne_u32_e32 vcc_lo, v22, v21
	v_lshrrev_b32_e32 v20, 16, v8
	v_cvt_f64_f32_e32 v[11:12], v12
	v_cvt_f32_f16_e32 v3, v3
	v_and_or_b32 v22, 0xffe, v26, v25
	s_clause 0x1
	scratch_load_b32 v25, off, off offset:20 th:TH_LOAD_LU
	scratch_load_b32 v26, off, off offset:16 th:TH_LOAD_LU
	v_add_nc_u32_e32 v21, 0xfffffc10, v24
	v_cvt_f64_f32_e32 v[8:9], v3
	s_wait_alu 0xfffd
	v_cndmask_b32_e64 v3, 0, 1, vcc_lo
	v_cmp_eq_u32_e32 vcc_lo, 0x40f, v19
	v_sub_nc_u32_e32 v24, 0x3f1, v27
	v_or_b32_e32 v19, 0x1000, v22
	v_and_or_b32 v18, 0x8000, v20, v18
	v_or_b32_e32 v3, v23, v3
	s_wait_alu 0xfffd
	v_cndmask_b32_e32 v15, v15, v17, vcc_lo
	v_lshl_or_b32 v17, v21, 12, v6
	v_cmp_gt_i32_e32 vcc_lo, 1, v21
	v_med3_i32 v23, v24, 0, 13
	v_lshrrev_b32_e32 v20, 16, v2
	v_and_or_b32 v5, 0x8000, v5, v15
	v_and_b32_e32 v15, 0xffff, v18
	s_wait_alu 0xfffd
	v_cndmask_b32_e32 v3, v17, v3, vcc_lo
	v_lshrrev_b32_e32 v17, v23, v19
	v_add_co_u32 v13, vcc_lo, v13, s14
	s_wait_alu 0xfffd
	v_add_co_ci_u32_e32 v14, vcc_lo, s15, v14, vcc_lo
	v_and_b32_e32 v16, 7, v3
	v_lshlrev_b32_e32 v18, v23, v17
	v_lshrrev_b32_e32 v3, 2, v3
	v_lshl_or_b32 v23, v5, 16, v15
	s_delay_alu instid0(VALU_DEP_4) | instskip(SKIP_3) | instid1(VALU_DEP_3)
	v_cmp_lt_i32_e32 vcc_lo, 5, v16
	v_cmp_eq_u32_e64 s0, 3, v16
	v_cmp_ne_u32_e64 s1, v18, v19
	v_add_nc_u32_e32 v19, 0xfffffc10, v27
	s_or_b32 vcc_lo, s0, vcc_lo
	v_mul_f64_e32 v[11:12], s[10:11], v[11:12]
	s_wait_alu 0xfffe
	v_add_co_ci_u32_e32 v3, vcc_lo, 0, v3, vcc_lo
	v_cndmask_b32_e64 v18, 0, 1, s1
	v_cmp_ne_u32_e32 vcc_lo, 0, v6
	v_mul_f64_e32 v[8:9], s[10:11], v[8:9]
	s_delay_alu instid0(VALU_DEP_3)
	v_or_b32_e32 v17, v17, v18
	v_lshl_or_b32 v18, v19, 12, v22
	s_wait_alu 0xfffd
	v_cndmask_b32_e64 v6, 0, 1, vcc_lo
	v_cmp_gt_i32_e32 vcc_lo, 1, v19
	s_wait_alu 0xfffd
	v_cndmask_b32_e32 v17, v18, v17, vcc_lo
	v_cmp_gt_i32_e32 vcc_lo, 31, v21
	v_lshl_or_b32 v18, v6, 9, 0x7c00
	s_wait_alu 0xfffd
	s_delay_alu instid0(VALU_DEP_3)
	v_dual_cndmask_b32 v3, 0x7c00, v3 :: v_dual_and_b32 v24, 7, v17
	v_add_co_u32 v5, vcc_lo, v13, s8
	s_wait_alu 0xfffd
	v_add_co_ci_u32_e32 v6, vcc_lo, s9, v14, vcc_lo
	v_cmp_eq_u32_e32 vcc_lo, 0x40f, v21
	s_wait_alu 0xfffd
	v_cndmask_b32_e32 v18, v3, v18, vcc_lo
	v_cmp_lt_i32_e32 vcc_lo, 5, v24
	v_and_or_b32 v11, 0x1ff, v12, v11
	v_bfe_u32 v21, v12, 20, 11
	s_delay_alu instid0(VALU_DEP_2)
	v_cmp_ne_u32_e64 s0, 0, v11
	v_lshrrev_b32_e32 v11, 8, v12
	v_and_or_b32 v8, 0x1ff, v9, v8
	v_lshrrev_b32_e32 v12, 16, v12
	s_wait_alu 0xf1ff
	v_cndmask_b32_e64 v3, 0, 1, s0
	v_cmp_eq_u32_e64 s0, 3, v24
	v_lshrrev_b32_e32 v24, 16, v7
	v_lshrrev_b32_e32 v7, 2, v17
	s_delay_alu instid0(VALU_DEP_4) | instskip(NEXT) | instid1(VALU_DEP_4)
	v_and_or_b32 v17, 0xffe, v11, v3
	s_or_b32 vcc_lo, s0, vcc_lo
	v_sub_nc_u32_e32 v3, 0x3f1, v21
	s_wait_alu 0xfffe
	v_add_co_ci_u32_e32 v7, vcc_lo, 0, v7, vcc_lo
	v_cmp_ne_u32_e32 vcc_lo, 0, v22
	v_or_b32_e32 v11, 0x1000, v17
	v_med3_i32 v3, v3, 0, 13
	v_add_nc_u32_e32 v21, 0xfffffc10, v21
	v_and_or_b32 v18, 0x8000, v24, v18
	s_wait_alu 0xfffd
	v_cndmask_b32_e64 v22, 0, 1, vcc_lo
	v_cmp_gt_i32_e32 vcc_lo, 31, v19
	s_delay_alu instid0(VALU_DEP_3) | instskip(NEXT) | instid1(VALU_DEP_3)
	v_and_b32_e32 v18, 0xffff, v18
	v_lshl_or_b32 v22, v22, 9, 0x7c00
	s_wait_loadcnt 0x1
	v_mul_f16_e32 v16, v25, v20
	s_wait_loadcnt 0x0
	s_delay_alu instid0(VALU_DEP_1) | instskip(SKIP_2) | instid1(VALU_DEP_3)
	v_fmac_f16_e32 v16, v26, v2
	v_mul_f16_e32 v2, v25, v2
	v_lshrrev_b32_e32 v25, v3, v11
	v_cvt_f32_f16_e32 v16, v16
	s_delay_alu instid0(VALU_DEP_3)
	v_fma_f16 v20, v26, v20, -v2
	s_wait_alu 0xfffd
	v_cndmask_b32_e32 v26, 0x7c00, v7, vcc_lo
	v_cmp_ne_u32_e32 vcc_lo, 0, v8
	v_lshlrev_b32_e32 v27, v3, v25
	v_cvt_f64_f32_e32 v[15:16], v16
	v_cvt_f32_f16_e32 v7, v20
	v_bfe_u32 v20, v9, 20, 11
	s_delay_alu instid0(VALU_DEP_2) | instskip(NEXT) | instid1(VALU_DEP_4)
	v_cvt_f64_f32_e32 v[7:8], v7
	v_mul_f64_e32 v[2:3], s[10:11], v[15:16]
	s_wait_alu 0xfffd
	v_cndmask_b32_e64 v15, 0, 1, vcc_lo
	v_cmp_eq_u32_e32 vcc_lo, 0x40f, v19
	v_lshrrev_b32_e32 v16, 8, v9
	v_lshrrev_b32_e32 v9, 16, v9
	v_mul_f64_e32 v[7:8], s[10:11], v[7:8]
	s_wait_alu 0xfffd
	v_cndmask_b32_e32 v19, v26, v22, vcc_lo
	v_cmp_ne_u32_e32 vcc_lo, v27, v11
	v_and_or_b32 v15, 0xffe, v16, v15
	v_sub_nc_u32_e32 v16, 0x3f1, v20
	v_lshrrev_b32_e32 v26, 16, v1
	v_and_or_b32 v10, 0x8000, v10, v19
	s_wait_alu 0xfffd
	v_cndmask_b32_e64 v11, 0, 1, vcc_lo
	v_cmp_gt_i32_e32 vcc_lo, 1, v21
	v_or_b32_e32 v22, 0x1000, v15
	v_med3_i32 v16, v16, 0, 13
	s_delay_alu instid0(VALU_DEP_4) | instskip(SKIP_1) | instid1(VALU_DEP_3)
	v_or_b32_e32 v11, v25, v11
	v_lshl_or_b32 v25, v21, 12, v17
	v_lshrrev_b32_e32 v27, v16, v22
	s_wait_alu 0xfffd
	s_delay_alu instid0(VALU_DEP_2)
	v_cndmask_b32_e32 v24, v25, v11, vcc_lo
	scratch_load_b32 v25, off, off offset:8 th:TH_LOAD_LU ; 4-byte Folded Reload
	v_mul_f16_e32 v11, v28, v26
	global_store_b32 v[13:14], v0, off
	global_store_b32 v[5:6], v23, off
	v_lshlrev_b32_e32 v16, v16, v27
	v_and_b32_e32 v19, 7, v24
	v_lshl_or_b32 v0, v10, 16, v18
	v_add_nc_u32_e32 v14, 0xfffffc10, v20
	s_delay_alu instid0(VALU_DEP_4)
	v_cmp_ne_u32_e64 s0, v16, v22
	v_lshrrev_b32_e32 v16, 2, v24
	scratch_load_b32 v24, off, off th:TH_LOAD_LU ; 4-byte Folded Reload
	v_cmp_lt_i32_e32 vcc_lo, 5, v19
	v_lshl_or_b32 v18, v14, 12, v15
	s_wait_alu 0xf1ff
	v_cndmask_b32_e64 v13, 0, 1, s0
	v_cmp_eq_u32_e64 s0, 3, v19
	v_and_or_b32 v2, 0x1ff, v3, v2
	v_lshrrev_b32_e32 v19, 8, v3
	v_bfe_u32 v20, v3, 20, 11
	v_or_b32_e32 v13, v27, v13
	s_or_b32 vcc_lo, s0, vcc_lo
	v_cmp_ne_u32_e64 s1, 0, v2
	s_wait_alu 0xfffe
	v_add_co_ci_u32_e32 v16, vcc_lo, 0, v16, vcc_lo
	v_cmp_gt_i32_e32 vcc_lo, 1, v14
	v_and_or_b32 v7, 0x1ff, v8, v7
	s_wait_alu 0xf1ff
	v_cndmask_b32_e64 v2, 0, 1, s1
	v_cmp_eq_u32_e64 s1, 0x40f, v21
	v_lshrrev_b32_e32 v3, 16, v3
	s_wait_alu 0xfffd
	v_cndmask_b32_e32 v13, v18, v13, vcc_lo
	v_cmp_ne_u32_e32 vcc_lo, 0, v17
	v_and_or_b32 v18, 0xffe, v19, v2
	v_sub_nc_u32_e32 v2, 0x3f1, v20
	s_delay_alu instid0(VALU_DEP_4)
	v_and_b32_e32 v19, 7, v13
	s_wait_alu 0xfffd
	v_cndmask_b32_e64 v17, 0, 1, vcc_lo
	v_cmp_gt_i32_e32 vcc_lo, 31, v21
	v_or_b32_e32 v22, 0x1000, v18
	v_med3_i32 v2, v2, 0, 13
	v_cmp_eq_u32_e64 s0, 3, v19
	v_lshrrev_b32_e32 v13, 2, v13
	s_wait_alu 0xfffd
	v_cndmask_b32_e32 v16, 0x7c00, v16, vcc_lo
	v_cmp_lt_i32_e32 vcc_lo, 5, v19
	v_lshrrev_b32_e32 v23, v2, v22
	v_lshl_or_b32 v17, v17, 9, 0x7c00
	v_lshrrev_b32_e32 v21, 16, v4
	s_or_b32 vcc_lo, s0, vcc_lo
	s_delay_alu instid0(VALU_DEP_3)
	v_lshlrev_b32_e32 v2, v2, v23
	s_wait_alu 0xfffe
	v_add_co_ci_u32_e32 v13, vcc_lo, 0, v13, vcc_lo
	v_cmp_ne_u32_e32 vcc_lo, 0, v15
	v_cndmask_b32_e64 v16, v16, v17, s1
	v_add_nc_u32_e32 v17, 0xfffffc10, v20
	v_bfe_u32 v20, v8, 20, 11
	s_wait_alu 0xfffd
	v_cndmask_b32_e64 v15, 0, 1, vcc_lo
	v_cmp_ne_u32_e32 vcc_lo, v2, v22
	v_lshl_or_b32 v19, v17, 12, v18
	v_and_or_b32 v16, 0x8000, v12, v16
	s_delay_alu instid0(VALU_DEP_4) | instskip(SKIP_4) | instid1(VALU_DEP_3)
	v_lshl_or_b32 v15, v15, 9, 0x7c00
	s_wait_alu 0xfffd
	v_cndmask_b32_e64 v2, 0, 1, vcc_lo
	v_cmp_gt_i32_e32 vcc_lo, 31, v14
	v_and_b32_e32 v16, 0xffff, v16
	v_or_b32_e32 v2, v23, v2
	s_wait_alu 0xfffd
	v_cndmask_b32_e32 v13, 0x7c00, v13, vcc_lo
	v_cmp_gt_i32_e32 vcc_lo, 1, v17
	s_wait_alu 0xfffd
	v_cndmask_b32_e32 v12, v19, v2, vcc_lo
	v_cmp_ne_u32_e32 vcc_lo, 0, v7
	v_lshrrev_b32_e32 v19, 8, v8
	v_lshrrev_b32_e32 v8, 16, v8
	s_wait_alu 0xfffd
	v_cndmask_b32_e64 v7, 0, 1, vcc_lo
	v_cmp_eq_u32_e32 vcc_lo, 0x40f, v14
	s_wait_alu 0xfffd
	v_dual_cndmask_b32 v13, v13, v15 :: v_dual_and_b32 v14, 7, v12
	s_delay_alu instid0(VALU_DEP_3) | instskip(SKIP_1) | instid1(VALU_DEP_3)
	v_and_or_b32 v15, 0xffe, v19, v7
	v_sub_nc_u32_e32 v7, 0x3f1, v20
	v_cmp_lt_i32_e32 vcc_lo, 5, v14
	v_cmp_eq_u32_e64 s0, 3, v14
	v_and_or_b32 v14, 0x8000, v9, v13
	v_lshrrev_b32_e32 v9, 2, v12
	v_or_b32_e32 v22, 0x1000, v15
	v_med3_i32 v7, v7, 0, 13
	s_or_b32 vcc_lo, s0, vcc_lo
	v_add_nc_u32_e32 v20, 0xfffffc10, v20
	s_wait_alu 0xfffe
	v_add_co_ci_u32_e32 v23, vcc_lo, 0, v9, vcc_lo
	v_lshrrev_b32_e32 v12, v7, v22
	v_cmp_ne_u32_e32 vcc_lo, 0, v18
	v_lshl_or_b32 v14, v14, 16, v16
	s_delay_alu instid0(VALU_DEP_3) | instskip(SKIP_2) | instid1(VALU_DEP_1)
	v_lshlrev_b32_e32 v7, v7, v12
	s_wait_alu 0xfffd
	v_cndmask_b32_e64 v18, 0, 1, vcc_lo
	v_lshl_or_b32 v18, v18, 9, 0x7c00
	s_wait_loadcnt 0x1
	v_fmac_f16_e32 v11, v25, v1
	v_mul_f16_e32 v1, v28, v1
	s_delay_alu instid0(VALU_DEP_2) | instskip(NEXT) | instid1(VALU_DEP_2)
	v_cvt_f32_f16_e32 v10, v11
	v_fma_f16 v1, v25, v26, -v1
	scratch_load_b32 v25, off, off offset:4 th:TH_LOAD_LU ; 4-byte Folded Reload
	v_cvt_f64_f32_e32 v[10:11], v10
	v_cvt_f32_f16_e32 v1, v1
	s_delay_alu instid0(VALU_DEP_1) | instskip(NEXT) | instid1(VALU_DEP_3)
	v_cvt_f64_f32_e32 v[1:2], v1
	v_mul_f64_e32 v[10:11], s[10:11], v[10:11]
	s_delay_alu instid0(VALU_DEP_2) | instskip(NEXT) | instid1(VALU_DEP_1)
	v_mul_f64_e32 v[1:2], s[10:11], v[1:2]
	v_and_or_b32 v1, 0x1ff, v2, v1
	s_wait_loadcnt 0x0
	v_mul_f16_e32 v19, v25, v21
	s_delay_alu instid0(VALU_DEP_1) | instskip(SKIP_1) | instid1(VALU_DEP_2)
	v_fmac_f16_e32 v19, v24, v4
	v_mul_f16_e32 v4, v25, v4
	v_cvt_f32_f16_e32 v13, v19
	v_and_or_b32 v19, 0x1ff, v11, v10
	s_delay_alu instid0(VALU_DEP_3)
	v_fma_f16 v4, v24, v21, -v4
	v_bfe_u32 v21, v11, 20, 11
	v_lshl_or_b32 v24, v20, 12, v15
	v_cvt_f64_f32_e32 v[9:10], v13
	v_cmp_ne_u32_e32 vcc_lo, 0, v19
	v_lshrrev_b32_e32 v19, 8, v11
	v_cvt_f32_f16_e32 v4, v4
	v_lshrrev_b32_e32 v11, 16, v11
	s_wait_alu 0xfffd
	v_cndmask_b32_e64 v13, 0, 1, vcc_lo
	v_cmp_ne_u32_e32 vcc_lo, v7, v22
	v_sub_nc_u32_e32 v22, 0x3f1, v21
	s_delay_alu instid0(VALU_DEP_3)
	v_and_or_b32 v19, 0xffe, v19, v13
	s_wait_alu 0xfffd
	v_cndmask_b32_e64 v7, 0, 1, vcc_lo
	v_cmp_gt_i32_e32 vcc_lo, 31, v17
	v_med3_i32 v22, v22, 0, 13
	v_or_b32_e32 v25, 0x1000, v19
	s_delay_alu instid0(VALU_DEP_4)
	v_or_b32_e32 v7, v12, v7
	v_cvt_f64_f32_e32 v[12:13], v4
	s_wait_alu 0xfffd
	v_cndmask_b32_e32 v23, 0x7c00, v23, vcc_lo
	v_cmp_gt_i32_e32 vcc_lo, 1, v20
	v_lshrrev_b32_e32 v26, v22, v25
	s_wait_alu 0xfffd
	v_cndmask_b32_e32 v24, v24, v7, vcc_lo
	v_add_co_u32 v4, vcc_lo, v5, s14
	s_wait_alu 0xfffd
	v_add_co_ci_u32_e32 v5, vcc_lo, s15, v6, vcc_lo
	s_delay_alu instid0(VALU_DEP_3) | instskip(SKIP_3) | instid1(VALU_DEP_4)
	v_and_b32_e32 v6, 7, v24
	v_cmp_eq_u32_e32 vcc_lo, 0x40f, v17
	v_lshlrev_b32_e32 v22, v22, v26
	v_add_nc_u32_e32 v17, 0xfffffc10, v21
	v_cmp_eq_u32_e64 s0, 3, v6
	s_wait_alu 0xfffd
	v_cndmask_b32_e32 v16, v23, v18, vcc_lo
	v_cmp_lt_i32_e32 vcc_lo, 5, v6
	v_mul_f64_e32 v[6:7], s[10:11], v[9:10]
	v_lshrrev_b32_e32 v9, 2, v24
	v_cmp_ne_u32_e64 s1, v22, v25
	v_lshl_or_b32 v21, v17, 12, v19
	s_or_b32 vcc_lo, s0, vcc_lo
	v_bfe_u32 v23, v2, 20, 11
	s_wait_alu 0xfffe
	v_add_co_ci_u32_e32 v9, vcc_lo, 0, v9, vcc_lo
	v_cmp_ne_u32_e32 vcc_lo, 0, v15
	v_cndmask_b32_e64 v10, 0, 1, s1
	v_and_or_b32 v3, 0x8000, v3, v16
	s_wait_alu 0xfffd
	v_cndmask_b32_e64 v15, 0, 1, vcc_lo
	v_cmp_gt_i32_e32 vcc_lo, 31, v20
	v_or_b32_e32 v18, v26, v10
	v_and_b32_e32 v3, 0xffff, v3
	s_delay_alu instid0(VALU_DEP_4)
	v_lshl_or_b32 v15, v15, 9, 0x7c00
	s_wait_alu 0xfffd
	v_cndmask_b32_e32 v22, 0x7c00, v9, vcc_lo
	v_mul_f64_e32 v[9:10], s[10:11], v[12:13]
	v_add_co_u32 v12, vcc_lo, v4, s14
	s_wait_alu 0xfffd
	v_add_co_ci_u32_e32 v13, vcc_lo, s15, v5, vcc_lo
	v_cmp_gt_i32_e32 vcc_lo, 1, v17
	s_wait_alu 0xfffd
	v_cndmask_b32_e32 v18, v21, v18, vcc_lo
	v_cmp_ne_u32_e32 vcc_lo, 0, v1
	v_lshrrev_b32_e32 v21, 8, v2
	v_lshrrev_b32_e32 v2, 16, v2
	s_wait_alu 0xfffd
	v_cndmask_b32_e64 v1, 0, 1, vcc_lo
	v_cmp_eq_u32_e32 vcc_lo, 0x40f, v20
	v_and_b32_e32 v20, 7, v18
	v_lshrrev_b32_e32 v18, 2, v18
	v_and_or_b32 v6, 0x1ff, v7, v6
	v_and_or_b32 v1, 0xffe, v21, v1
	s_wait_alu 0xfffd
	v_cndmask_b32_e32 v15, v22, v15, vcc_lo
	v_sub_nc_u32_e32 v21, 0x3f1, v23
	v_cmp_lt_i32_e32 vcc_lo, 5, v20
	v_cmp_eq_u32_e64 s0, 3, v20
	v_bfe_u32 v22, v7, 20, 11
	v_and_or_b32 v8, 0x8000, v8, v15
	v_or_b32_e32 v15, 0x1000, v1
	v_med3_i32 v16, v21, 0, 13
	s_or_b32 vcc_lo, s0, vcc_lo
	v_lshrrev_b32_e32 v21, 8, v7
	s_wait_alu 0xfffe
	v_add_co_ci_u32_e32 v18, vcc_lo, 0, v18, vcc_lo
	v_lshrrev_b32_e32 v20, v16, v15
	v_cmp_ne_u32_e32 vcc_lo, 0, v6
	v_lshrrev_b32_e32 v7, 16, v7
	v_lshl_or_b32 v3, v8, 16, v3
	v_and_or_b32 v9, 0x1ff, v10, v9
	v_lshlrev_b32_e32 v16, v16, v20
	s_wait_alu 0xfffd
	v_cndmask_b32_e64 v6, 0, 1, vcc_lo
	v_cmp_ne_u32_e32 vcc_lo, 0, v19
	v_lshrrev_b32_e32 v24, 8, v10
	v_bfe_u32 v25, v10, 20, 11
	s_delay_alu instid0(VALU_DEP_4)
	v_and_or_b32 v6, 0xffe, v21, v6
	s_wait_alu 0xfffd
	v_cndmask_b32_e64 v19, 0, 1, vcc_lo
	v_cmp_ne_u32_e32 vcc_lo, v16, v15
	v_sub_nc_u32_e32 v21, 0x3f1, v22
	v_add_nc_u32_e32 v16, 0xfffffc10, v23
	v_or_b32_e32 v23, 0x1000, v6
	v_lshl_or_b32 v19, v19, 9, 0x7c00
	s_wait_alu 0xfffd
	v_cndmask_b32_e64 v15, 0, 1, vcc_lo
	v_cmp_gt_i32_e32 vcc_lo, 31, v17
	v_med3_i32 v21, v21, 0, 13
	s_delay_alu instid0(VALU_DEP_3)
	v_or_b32_e32 v15, v20, v15
	s_wait_alu 0xfffd
	v_cndmask_b32_e32 v18, 0x7c00, v18, vcc_lo
	v_cmp_ne_u32_e32 vcc_lo, 0, v9
	v_lshl_or_b32 v20, v16, 12, v1
	v_lshrrev_b32_e32 v26, v21, v23
	s_wait_alu 0xfffd
	v_cndmask_b32_e64 v9, 0, 1, vcc_lo
	v_cmp_gt_i32_e32 vcc_lo, 1, v16
	s_delay_alu instid0(VALU_DEP_2)
	v_and_or_b32 v9, 0xffe, v24, v9
	v_sub_nc_u32_e32 v24, 0x3f1, v25
	s_wait_alu 0xfffd
	v_dual_cndmask_b32 v15, v20, v15 :: v_dual_lshlrev_b32 v20, v21, v26
	v_cmp_eq_u32_e32 vcc_lo, 0x40f, v17
	v_or_b32_e32 v21, 0x1000, v9
	v_med3_i32 v24, v24, 0, 13
	s_delay_alu instid0(VALU_DEP_4)
	v_and_b32_e32 v27, 7, v15
	v_lshrrev_b32_e32 v15, 2, v15
	s_wait_alu 0xfffd
	v_cndmask_b32_e32 v17, v18, v19, vcc_lo
	v_cmp_ne_u32_e32 vcc_lo, v20, v23
	v_add_nc_u32_e32 v19, 0xfffffc10, v22
	v_lshrrev_b32_e32 v20, v24, v21
	v_cmp_eq_u32_e64 s0, 3, v27
	v_and_or_b32 v11, 0x8000, v11, v17
	s_wait_alu 0xfffd
	v_cndmask_b32_e64 v18, 0, 1, vcc_lo
	v_lshl_or_b32 v22, v19, 12, v6
	v_lshlrev_b32_e32 v23, v24, v20
	v_cmp_gt_i32_e64 s1, 1, v19
	v_cmp_lt_i32_e32 vcc_lo, 5, v27
	v_or_b32_e32 v18, v26, v18
	v_and_b32_e32 v11, 0xffff, v11
	s_or_b32 vcc_lo, s0, vcc_lo
	s_delay_alu instid0(VALU_DEP_2)
	v_cndmask_b32_e64 v18, v22, v18, s1
	v_cmp_ne_u32_e64 s1, v23, v21
	v_add_nc_u32_e32 v22, 0xfffffc10, v25
	s_wait_alu 0xfffe
	v_add_co_ci_u32_e32 v15, vcc_lo, 0, v15, vcc_lo
	v_and_b32_e32 v23, 7, v18
	s_wait_alu 0xf1ff
	v_cndmask_b32_e64 v21, 0, 1, s1
	v_cmp_ne_u32_e32 vcc_lo, 0, v1
	v_cmp_gt_i32_e64 s0, 1, v22
	v_lshrrev_b32_e32 v18, 2, v18
	v_cmp_gt_i32_e64 s1, 31, v16
	v_or_b32_e32 v20, v20, v21
	v_lshl_or_b32 v21, v22, 12, v9
	s_wait_alu 0xfffd
	v_cndmask_b32_e64 v1, 0, 1, vcc_lo
	v_cmp_lt_i32_e32 vcc_lo, 5, v23
	s_wait_alu 0xf1ff
	v_cndmask_b32_e64 v15, 0x7c00, v15, s1
	v_cmp_eq_u32_e64 s1, 0x40f, v16
	v_cndmask_b32_e64 v17, v21, v20, s0
	v_cmp_eq_u32_e64 s0, 3, v23
	v_lshl_or_b32 v1, v1, 9, 0x7c00
	s_delay_alu instid0(VALU_DEP_3) | instskip(NEXT) | instid1(VALU_DEP_3)
	v_and_b32_e32 v20, 7, v17
	s_or_b32 vcc_lo, s0, vcc_lo
	s_delay_alu instid0(VALU_DEP_2)
	v_cndmask_b32_e64 v1, v15, v1, s1
	s_wait_alu 0xfffe
	v_add_co_ci_u32_e32 v18, vcc_lo, 0, v18, vcc_lo
	v_cmp_ne_u32_e32 vcc_lo, 0, v6
	v_cmp_eq_u32_e64 s0, 3, v20
	v_lshrrev_b32_e32 v15, 2, v17
	v_cmp_gt_i32_e64 s1, 31, v19
	v_and_or_b32 v8, 0x8000, v2, v1
	s_wait_alu 0xfffd
	v_cndmask_b32_e64 v6, 0, 1, vcc_lo
	v_cmp_lt_i32_e32 vcc_lo, 5, v20
	s_wait_alu 0xf1ff
	v_cndmask_b32_e64 v16, 0x7c00, v18, s1
	s_delay_alu instid0(VALU_DEP_3)
	v_lshl_or_b32 v6, v6, 9, 0x7c00
	s_or_b32 vcc_lo, s0, vcc_lo
	s_wait_alu 0xfffe
	v_add_co_ci_u32_e32 v15, vcc_lo, 0, v15, vcc_lo
	v_cmp_ne_u32_e32 vcc_lo, 0, v9
	s_wait_alu 0xfffd
	v_cndmask_b32_e64 v9, 0, 1, vcc_lo
	v_cmp_eq_u32_e32 vcc_lo, 0x40f, v19
	s_delay_alu instid0(VALU_DEP_2) | instskip(SKIP_3) | instid1(VALU_DEP_2)
	v_lshl_or_b32 v9, v9, 9, 0x7c00
	s_wait_alu 0xfffd
	v_cndmask_b32_e32 v6, v16, v6, vcc_lo
	v_cmp_gt_i32_e32 vcc_lo, 31, v22
	v_and_or_b32 v6, 0x8000, v7, v6
	s_wait_alu 0xfffd
	v_cndmask_b32_e32 v15, 0x7c00, v15, vcc_lo
	v_cmp_eq_u32_e32 vcc_lo, 0x40f, v22
	s_wait_alu 0xfffd
	s_delay_alu instid0(VALU_DEP_2)
	v_cndmask_b32_e32 v7, v15, v9, vcc_lo
	v_lshrrev_b32_e32 v9, 16, v10
	v_add_co_u32 v1, vcc_lo, v12, s8
	s_wait_alu 0xfffd
	v_add_co_ci_u32_e32 v2, vcc_lo, s9, v13, vcc_lo
	v_lshl_or_b32 v10, v8, 16, v11
	v_and_or_b32 v8, 0x8000, v9, v7
	v_and_b32_e32 v9, 0xffff, v6
	v_add_co_u32 v6, vcc_lo, v1, s14
	s_wait_alu 0xfffd
	v_add_co_ci_u32_e32 v7, vcc_lo, s15, v2, vcc_lo
	s_delay_alu instid0(VALU_DEP_3) | instskip(NEXT) | instid1(VALU_DEP_3)
	v_lshl_or_b32 v11, v8, 16, v9
	v_add_co_u32 v8, vcc_lo, v6, s14
	s_wait_alu 0xfffd
	s_delay_alu instid0(VALU_DEP_3)
	v_add_co_ci_u32_e32 v9, vcc_lo, s15, v7, vcc_lo
	global_store_b32 v[4:5], v0, off
	global_store_b32 v[12:13], v14, off
	;; [unrolled: 1-line block ×5, first 2 shown]
.LBB0_2:
	s_nop 0
	s_sendmsg sendmsg(MSG_DEALLOC_VGPRS)
	s_endpgm
	.section	.rodata,"a",@progbits
	.p2align	6, 0x0
	.amdhsa_kernel bluestein_single_back_len3240_dim1_half_op_CI_CI
		.amdhsa_group_segment_fixed_size 12960
		.amdhsa_private_segment_fixed_size 372
		.amdhsa_kernarg_size 104
		.amdhsa_user_sgpr_count 2
		.amdhsa_user_sgpr_dispatch_ptr 0
		.amdhsa_user_sgpr_queue_ptr 0
		.amdhsa_user_sgpr_kernarg_segment_ptr 1
		.amdhsa_user_sgpr_dispatch_id 0
		.amdhsa_user_sgpr_private_segment_size 0
		.amdhsa_wavefront_size32 1
		.amdhsa_uses_dynamic_stack 0
		.amdhsa_enable_private_segment 1
		.amdhsa_system_sgpr_workgroup_id_x 1
		.amdhsa_system_sgpr_workgroup_id_y 0
		.amdhsa_system_sgpr_workgroup_id_z 0
		.amdhsa_system_sgpr_workgroup_info 0
		.amdhsa_system_vgpr_workitem_id 0
		.amdhsa_next_free_vgpr 256
		.amdhsa_next_free_sgpr 20
		.amdhsa_reserve_vcc 1
		.amdhsa_float_round_mode_32 0
		.amdhsa_float_round_mode_16_64 0
		.amdhsa_float_denorm_mode_32 3
		.amdhsa_float_denorm_mode_16_64 3
		.amdhsa_fp16_overflow 0
		.amdhsa_workgroup_processor_mode 1
		.amdhsa_memory_ordered 1
		.amdhsa_forward_progress 0
		.amdhsa_round_robin_scheduling 0
		.amdhsa_exception_fp_ieee_invalid_op 0
		.amdhsa_exception_fp_denorm_src 0
		.amdhsa_exception_fp_ieee_div_zero 0
		.amdhsa_exception_fp_ieee_overflow 0
		.amdhsa_exception_fp_ieee_underflow 0
		.amdhsa_exception_fp_ieee_inexact 0
		.amdhsa_exception_int_div_zero 0
	.end_amdhsa_kernel
	.text
.Lfunc_end0:
	.size	bluestein_single_back_len3240_dim1_half_op_CI_CI, .Lfunc_end0-bluestein_single_back_len3240_dim1_half_op_CI_CI
                                        ; -- End function
	.section	.AMDGPU.csdata,"",@progbits
; Kernel info:
; codeLenInByte = 60792
; NumSgprs: 22
; NumVgprs: 256
; ScratchSize: 372
; MemoryBound: 0
; FloatMode: 240
; IeeeMode: 1
; LDSByteSize: 12960 bytes/workgroup (compile time only)
; SGPRBlocks: 2
; VGPRBlocks: 31
; NumSGPRsForWavesPerEU: 22
; NumVGPRsForWavesPerEU: 256
; Occupancy: 5
; WaveLimiterHint : 1
; COMPUTE_PGM_RSRC2:SCRATCH_EN: 1
; COMPUTE_PGM_RSRC2:USER_SGPR: 2
; COMPUTE_PGM_RSRC2:TRAP_HANDLER: 0
; COMPUTE_PGM_RSRC2:TGID_X_EN: 1
; COMPUTE_PGM_RSRC2:TGID_Y_EN: 0
; COMPUTE_PGM_RSRC2:TGID_Z_EN: 0
; COMPUTE_PGM_RSRC2:TIDIG_COMP_CNT: 0
	.text
	.p2alignl 7, 3214868480
	.fill 96, 4, 3214868480
	.type	__hip_cuid_a41073d2439e011d,@object ; @__hip_cuid_a41073d2439e011d
	.section	.bss,"aw",@nobits
	.globl	__hip_cuid_a41073d2439e011d
__hip_cuid_a41073d2439e011d:
	.byte	0                               ; 0x0
	.size	__hip_cuid_a41073d2439e011d, 1

	.ident	"AMD clang version 19.0.0git (https://github.com/RadeonOpenCompute/llvm-project roc-6.4.0 25133 c7fe45cf4b819c5991fe208aaa96edf142730f1d)"
	.section	".note.GNU-stack","",@progbits
	.addrsig
	.addrsig_sym __hip_cuid_a41073d2439e011d
	.amdgpu_metadata
---
amdhsa.kernels:
  - .args:
      - .actual_access:  read_only
        .address_space:  global
        .offset:         0
        .size:           8
        .value_kind:     global_buffer
      - .actual_access:  read_only
        .address_space:  global
        .offset:         8
        .size:           8
        .value_kind:     global_buffer
      - .actual_access:  read_only
        .address_space:  global
        .offset:         16
        .size:           8
        .value_kind:     global_buffer
      - .actual_access:  read_only
        .address_space:  global
        .offset:         24
        .size:           8
        .value_kind:     global_buffer
      - .actual_access:  read_only
        .address_space:  global
        .offset:         32
        .size:           8
        .value_kind:     global_buffer
      - .offset:         40
        .size:           8
        .value_kind:     by_value
      - .address_space:  global
        .offset:         48
        .size:           8
        .value_kind:     global_buffer
      - .address_space:  global
        .offset:         56
        .size:           8
        .value_kind:     global_buffer
      - .address_space:  global
        .offset:         64
        .size:           8
        .value_kind:     global_buffer
      - .address_space:  global
        .offset:         72
        .size:           8
        .value_kind:     global_buffer
      - .offset:         80
        .size:           4
        .value_kind:     by_value
      - .address_space:  global
        .offset:         88
        .size:           8
        .value_kind:     global_buffer
      - .address_space:  global
        .offset:         96
        .size:           8
        .value_kind:     global_buffer
    .group_segment_fixed_size: 12960
    .kernarg_segment_align: 8
    .kernarg_segment_size: 104
    .language:       OpenCL C
    .language_version:
      - 2
      - 0
    .max_flat_workgroup_size: 108
    .name:           bluestein_single_back_len3240_dim1_half_op_CI_CI
    .private_segment_fixed_size: 372
    .sgpr_count:     22
    .sgpr_spill_count: 0
    .symbol:         bluestein_single_back_len3240_dim1_half_op_CI_CI.kd
    .uniform_work_group_size: 1
    .uses_dynamic_stack: false
    .vgpr_count:     256
    .vgpr_spill_count: 92
    .wavefront_size: 32
    .workgroup_processor_mode: 1
amdhsa.target:   amdgcn-amd-amdhsa--gfx1201
amdhsa.version:
  - 1
  - 2
...

	.end_amdgpu_metadata
